;; amdgpu-corpus repo=ROCm/rocm-libraries kind=compiled arch=gfx950 opt=O3
	.amdgcn_target "amdgcn-amd-amdhsa--gfx950"
	.amdhsa_code_object_version 6
	.text
	.protected	check_numerics_fp32     ; -- Begin function check_numerics_fp32
	.globl	check_numerics_fp32
	.p2align	8
	.type	check_numerics_fp32,@function
check_numerics_fp32:                    ; @check_numerics_fp32
; %bb.0:
	s_load_dword s8, s[0:1], 0x20
	s_add_u32 s3, s0, 32
	s_addc_u32 s5, s1, 0
	v_mov_b32_e32 v7, 0
	v_mov_b32_e32 v4, 0x7f7fffff
	s_waitcnt lgkmcnt(0)
	s_cmp_lt_u32 s2, s8
	s_cselect_b32 s4, 12, 18
	s_add_u32 s4, s3, s4
	s_addc_u32 s5, s5, 0
	global_load_ushort v1, v7, s[4:5]
	s_load_dwordx4 s[4:7], s[0:1], 0x8
	v_mov_b32_e32 v5, 0x800000
	v_mov_b32_e32 v3, v7
	s_waitcnt vmcnt(0)
	v_mul_lo_u32 v2, s2, v1
	v_add_u32_e32 v6, v2, v0
	s_waitcnt lgkmcnt(0)
	v_cmp_gt_u64_e32 vcc, s[4:5], v[6:7]
	v_mov_b32_e32 v2, v7
	s_and_saveexec_b64 s[2:3], vcc
	s_cbranch_execz .LBB0_10
; %bb.1:
	s_load_dwordx2 s[10:11], s[0:1], 0x0
	v_mul_lo_u32 v8, s8, v1
	v_mov_b32_e32 v9, 0
	v_mov_b32_e32 v5, 0x800000
	v_lshlrev_b64 v[10:11], 2, v[8:9]
	s_waitcnt lgkmcnt(0)
	v_lshl_add_u64 v[12:13], v[6:7], 2, s[10:11]
	v_mov_b32_e32 v4, 0x7f7fffff
	s_mov_b64 s[8:9], 0
	v_mov_b32_e32 v1, 1
	s_movk_i32 s12, 0x204
	v_mov_b32_e32 v2, v9
	v_mov_b32_e32 v3, v9
	s_branch .LBB0_3
.LBB0_2:                                ;   in Loop: Header=BB0_3 Depth=1
	s_or_b64 exec, exec, s[10:11]
	v_and_b32_e32 v15, 0x7fffffff, v14
	v_lshl_add_u64 v[6:7], v[6:7], 0, v[8:9]
	v_pk_add_f32 v[2:3], v[2:3], v[14:15]
	v_max_f32_e32 v4, v4, v4
	v_max_f32_e32 v14, v14, v14
	;; [unrolled: 1-line block ×3, first 2 shown]
	v_cmp_le_u64_e32 vcc, s[4:5], v[6:7]
	v_min_f32_e32 v4, v4, v14
	v_max_f32_e32 v5, v5, v14
	s_or_b64 s[8:9], vcc, s[8:9]
	v_lshl_add_u64 v[12:13], v[12:13], 0, v[10:11]
	s_andn2_b64 exec, exec, s[8:9]
	s_cbranch_execz .LBB0_9
.LBB0_3:                                ; =>This Inner Loop Header: Depth=1
	global_load_dword v14, v[12:13], off
	s_waitcnt vmcnt(0)
	v_cmp_eq_f32_e32 vcc, 0, v14
	s_and_saveexec_b64 s[10:11], vcc
	s_cbranch_execnz .LBB0_6
; %bb.4:                                ;   in Loop: Header=BB0_3 Depth=1
	s_or_b64 exec, exec, s[10:11]
	v_cmp_u_f32_e32 vcc, v14, v14
	s_and_saveexec_b64 s[10:11], vcc
	s_cbranch_execnz .LBB0_7
.LBB0_5:                                ;   in Loop: Header=BB0_3 Depth=1
	s_or_b64 exec, exec, s[10:11]
	v_cmp_class_f32_e64 s[14:15], v14, s12
	s_and_saveexec_b64 s[10:11], s[14:15]
	s_cbranch_execz .LBB0_2
	s_branch .LBB0_8
.LBB0_6:                                ;   in Loop: Header=BB0_3 Depth=1
	global_store_dword v9, v1, s[6:7] offset:16
	s_or_b64 exec, exec, s[10:11]
	v_cmp_u_f32_e32 vcc, v14, v14
	s_and_saveexec_b64 s[10:11], vcc
	s_cbranch_execz .LBB0_5
.LBB0_7:                                ;   in Loop: Header=BB0_3 Depth=1
	global_store_dword v9, v1, s[6:7] offset:20
	s_or_b64 exec, exec, s[10:11]
	v_cmp_class_f32_e64 s[14:15], v14, s12
	s_and_saveexec_b64 s[10:11], s[14:15]
	s_cbranch_execz .LBB0_2
.LBB0_8:                                ;   in Loop: Header=BB0_3 Depth=1
	global_store_dword v9, v1, s[6:7] offset:24
	s_branch .LBB0_2
.LBB0_9:
	s_or_b64 exec, exec, s[8:9]
.LBB0_10:
	s_or_b64 exec, exec, s[2:3]
	s_load_dword s0, s[0:1], 0x18
	s_waitcnt lgkmcnt(0)
	s_bitcmp1_b32 s0, 0
	s_cselect_b64 s[0:1], -1, 0
	s_and_b64 vcc, exec, s[0:1]
	s_cbranch_vccz .LBB0_38
; %bb.11:
	s_movk_i32 s0, 0x80
	v_lshlrev_b32_e32 v1, 4, v0
	v_cmp_gt_u32_e32 vcc, s0, v0
	ds_write_b128 v1, v[2:5]
	s_waitcnt lgkmcnt(0)
	s_barrier
	s_and_saveexec_b64 s[0:1], vcc
	s_cbranch_execz .LBB0_13
; %bb.12:
	ds_read_b128 v[2:5], v1 offset:2048
	ds_read_b128 v[6:9], v1
	s_waitcnt lgkmcnt(1)
	v_max_f32_e32 v4, v4, v4
	s_waitcnt lgkmcnt(0)
	v_pk_add_f32 v[2:3], v[2:3], v[6:7]
	v_max_f32_e32 v6, v8, v8
	v_max_f32_e32 v5, v5, v5
	v_min_f32_e32 v4, v6, v4
	v_max_f32_e32 v6, v9, v9
	v_max_f32_e32 v5, v6, v5
	ds_write_b128 v1, v[2:5]
.LBB0_13:
	s_or_b64 exec, exec, s[0:1]
	v_cmp_gt_u32_e32 vcc, 64, v0
	s_waitcnt lgkmcnt(0)
	s_barrier
	s_and_saveexec_b64 s[0:1], vcc
	s_cbranch_execz .LBB0_15
; %bb.14:
	ds_read_b128 v[2:5], v1 offset:1024
	ds_read_b128 v[6:9], v1
	s_waitcnt lgkmcnt(1)
	v_max_f32_e32 v4, v4, v4
	s_waitcnt lgkmcnt(0)
	v_pk_add_f32 v[2:3], v[2:3], v[6:7]
	v_max_f32_e32 v6, v8, v8
	v_max_f32_e32 v5, v5, v5
	v_min_f32_e32 v4, v6, v4
	v_max_f32_e32 v6, v9, v9
	v_max_f32_e32 v5, v6, v5
	ds_write_b128 v1, v[2:5]
.LBB0_15:
	s_or_b64 exec, exec, s[0:1]
	v_cmp_gt_u32_e32 vcc, 32, v0
	;; [unrolled: 20-line block ×6, first 2 shown]
	s_waitcnt lgkmcnt(0)
	s_barrier
	s_and_saveexec_b64 s[0:1], vcc
	s_cbranch_execz .LBB0_25
; %bb.24:
	ds_read_b128 v[2:5], v1
	ds_read_b128 v[6:9], v1 offset:32
	s_waitcnt lgkmcnt(1)
	v_max_f32_e32 v4, v4, v4
	s_waitcnt lgkmcnt(0)
	v_pk_add_f32 v[2:3], v[6:7], v[2:3]
	v_max_f32_e32 v6, v8, v8
	v_max_f32_e32 v7, v9, v9
	;; [unrolled: 1-line block ×3, first 2 shown]
	v_min_f32_e32 v4, v4, v6
	v_max_f32_e32 v5, v5, v7
	ds_write_b128 v1, v[2:5]
.LBB0_25:
	s_or_b64 exec, exec, s[0:1]
	v_cmp_eq_u32_e32 vcc, 0, v0
	s_waitcnt lgkmcnt(0)
	s_barrier
	s_and_saveexec_b64 s[0:1], vcc
	s_cbranch_execz .LBB0_27
; %bb.26:
	ds_read_b128 v[2:5], v1
	ds_read_b128 v[6:9], v1 offset:16
	s_waitcnt lgkmcnt(1)
	v_max_f32_e32 v4, v4, v4
	s_waitcnt lgkmcnt(0)
	v_max_f32_e32 v0, v8, v8
	v_pk_add_f32 v[2:3], v[6:7], v[2:3]
	v_max_f32_e32 v6, v9, v9
	v_min_f32_e32 v4, v4, v0
	v_max_f32_e32 v0, v5, v5
	v_max_f32_e32 v5, v0, v6
	ds_write_b128 v1, v[2:5]
.LBB0_27:
	s_or_b64 exec, exec, s[0:1]
	s_waitcnt lgkmcnt(0)
	s_barrier
	s_and_saveexec_b64 s[0:1], vcc
	s_cbranch_execz .LBB0_38
; %bb.28:
	s_mov_b64 s[2:3], exec
	v_mbcnt_lo_u32_b32 v0, s2, 0
	v_mbcnt_hi_u32_b32 v0, s3, v0
	v_cmp_eq_u32_e32 vcc, 0, v0
	s_and_saveexec_b64 s[0:1], vcc
	s_cbranch_execz .LBB0_30
; %bb.29:
	v_mov_b32_e32 v0, 0
	ds_read_b32 v1, v0
	s_bcnt1_i32_b64 s2, s[2:3]
	v_cvt_f32_ubyte0_e32 v2, s2
	s_waitcnt lgkmcnt(0)
	v_mul_f32_e32 v1, v1, v2
	global_atomic_add_f32 v0, v1, s[6:7]
.LBB0_30:
	s_or_b64 exec, exec, s[0:1]
	s_mov_b64 s[2:3], exec
	v_mbcnt_lo_u32_b32 v0, s2, 0
	v_mbcnt_hi_u32_b32 v0, s3, v0
	v_cmp_eq_u32_e32 vcc, 0, v0
	s_and_saveexec_b64 s[0:1], vcc
	s_cbranch_execz .LBB0_32
; %bb.31:
	v_mov_b32_e32 v0, 0
	ds_read_b32 v1, v0 offset:4
	s_bcnt1_i32_b64 s2, s[2:3]
	v_cvt_f32_ubyte0_e32 v2, s2
	s_waitcnt lgkmcnt(0)
	v_mul_f32_e32 v1, v1, v2
	global_atomic_add_f32 v0, v1, s[6:7] offset:4
.LBB0_32:
	s_or_b64 exec, exec, s[0:1]
	v_mbcnt_lo_u32_b32 v0, exec_lo, 0
	v_mbcnt_hi_u32_b32 v0, exec_hi, v0
	v_cmp_eq_u32_e32 vcc, 0, v0
	s_and_saveexec_b64 s[0:1], vcc
	s_cbranch_execz .LBB0_35
; %bb.33:
	v_mov_b32_e32 v2, 0
	s_load_dword s4, s[6:7], 0x8
	ds_read_b32 v0, v2 offset:8
	s_mov_b64 s[2:3], 0
	s_waitcnt lgkmcnt(0)
	v_mov_b32_e32 v1, s4
	v_max_f32_e32 v3, v0, v0
.LBB0_34:                               ; =>This Inner Loop Header: Depth=1
	v_max_f32_e32 v0, v1, v1
	v_min_f32_e32 v0, v0, v3
	global_atomic_cmpswap v0, v2, v[0:1], s[6:7] offset:8 sc0
	s_waitcnt vmcnt(0)
	v_cmp_eq_u32_e32 vcc, v0, v1
	s_or_b64 s[2:3], vcc, s[2:3]
	v_mov_b32_e32 v1, v0
	s_andn2_b64 exec, exec, s[2:3]
	s_cbranch_execnz .LBB0_34
.LBB0_35:
	s_or_b64 exec, exec, s[0:1]
	v_mbcnt_lo_u32_b32 v0, exec_lo, 0
	v_mbcnt_hi_u32_b32 v0, exec_hi, v0
	v_cmp_eq_u32_e32 vcc, 0, v0
	s_and_b64 exec, exec, vcc
	s_cbranch_execz .LBB0_38
; %bb.36:
	v_mov_b32_e32 v2, 0
	s_load_dword s2, s[6:7], 0xc
	ds_read_b32 v0, v2 offset:12
	s_mov_b64 s[0:1], 0
	s_waitcnt lgkmcnt(0)
	v_mov_b32_e32 v1, s2
	v_max_f32_e32 v3, v0, v0
.LBB0_37:                               ; =>This Inner Loop Header: Depth=1
	v_max_f32_e32 v0, v1, v1
	v_max_f32_e32 v0, v0, v3
	global_atomic_cmpswap v0, v2, v[0:1], s[6:7] offset:12 sc0
	s_waitcnt vmcnt(0)
	v_cmp_eq_u32_e32 vcc, v0, v1
	s_or_b64 s[0:1], vcc, s[0:1]
	v_mov_b32_e32 v1, v0
	s_andn2_b64 exec, exec, s[0:1]
	s_cbranch_execnz .LBB0_37
.LBB0_38:
	s_endpgm
	.section	.rodata,"a",@progbits
	.p2align	6, 0x0
	.amdhsa_kernel check_numerics_fp32
		.amdhsa_group_segment_fixed_size 4096
		.amdhsa_private_segment_fixed_size 0
		.amdhsa_kernarg_size 288
		.amdhsa_user_sgpr_count 2
		.amdhsa_user_sgpr_dispatch_ptr 0
		.amdhsa_user_sgpr_queue_ptr 0
		.amdhsa_user_sgpr_kernarg_segment_ptr 1
		.amdhsa_user_sgpr_dispatch_id 0
		.amdhsa_user_sgpr_kernarg_preload_length 0
		.amdhsa_user_sgpr_kernarg_preload_offset 0
		.amdhsa_user_sgpr_private_segment_size 0
		.amdhsa_uses_dynamic_stack 0
		.amdhsa_enable_private_segment 0
		.amdhsa_system_sgpr_workgroup_id_x 1
		.amdhsa_system_sgpr_workgroup_id_y 0
		.amdhsa_system_sgpr_workgroup_id_z 0
		.amdhsa_system_sgpr_workgroup_info 0
		.amdhsa_system_vgpr_workitem_id 0
		.amdhsa_next_free_vgpr 16
		.amdhsa_next_free_sgpr 16
		.amdhsa_accum_offset 16
		.amdhsa_reserve_vcc 1
		.amdhsa_float_round_mode_32 0
		.amdhsa_float_round_mode_16_64 0
		.amdhsa_float_denorm_mode_32 3
		.amdhsa_float_denorm_mode_16_64 3
		.amdhsa_dx10_clamp 1
		.amdhsa_ieee_mode 1
		.amdhsa_fp16_overflow 0
		.amdhsa_tg_split 0
		.amdhsa_exception_fp_ieee_invalid_op 0
		.amdhsa_exception_fp_denorm_src 0
		.amdhsa_exception_fp_ieee_div_zero 0
		.amdhsa_exception_fp_ieee_overflow 0
		.amdhsa_exception_fp_ieee_underflow 0
		.amdhsa_exception_fp_ieee_inexact 0
		.amdhsa_exception_int_div_zero 0
	.end_amdhsa_kernel
	.text
.Lfunc_end0:
	.size	check_numerics_fp32, .Lfunc_end0-check_numerics_fp32
                                        ; -- End function
	.set check_numerics_fp32.num_vgpr, 16
	.set check_numerics_fp32.num_agpr, 0
	.set check_numerics_fp32.numbered_sgpr, 16
	.set check_numerics_fp32.num_named_barrier, 0
	.set check_numerics_fp32.private_seg_size, 0
	.set check_numerics_fp32.uses_vcc, 1
	.set check_numerics_fp32.uses_flat_scratch, 0
	.set check_numerics_fp32.has_dyn_sized_stack, 0
	.set check_numerics_fp32.has_recursion, 0
	.set check_numerics_fp32.has_indirect_call, 0
	.section	.AMDGPU.csdata,"",@progbits
; Kernel info:
; codeLenInByte = 1524
; TotalNumSgprs: 22
; NumVgprs: 16
; NumAgprs: 0
; TotalNumVgprs: 16
; ScratchSize: 0
; MemoryBound: 0
; FloatMode: 240
; IeeeMode: 1
; LDSByteSize: 4096 bytes/workgroup (compile time only)
; SGPRBlocks: 2
; VGPRBlocks: 1
; NumSGPRsForWavesPerEU: 22
; NumVGPRsForWavesPerEU: 16
; AccumOffset: 16
; Occupancy: 8
; WaveLimiterHint : 0
; COMPUTE_PGM_RSRC2:SCRATCH_EN: 0
; COMPUTE_PGM_RSRC2:USER_SGPR: 2
; COMPUTE_PGM_RSRC2:TRAP_HANDLER: 0
; COMPUTE_PGM_RSRC2:TGID_X_EN: 1
; COMPUTE_PGM_RSRC2:TGID_Y_EN: 0
; COMPUTE_PGM_RSRC2:TGID_Z_EN: 0
; COMPUTE_PGM_RSRC2:TIDIG_COMP_CNT: 0
; COMPUTE_PGM_RSRC3_GFX90A:ACCUM_OFFSET: 3
; COMPUTE_PGM_RSRC3_GFX90A:TG_SPLIT: 0
	.text
	.protected	check_numerics_fp16     ; -- Begin function check_numerics_fp16
	.globl	check_numerics_fp16
	.p2align	8
	.type	check_numerics_fp16,@function
check_numerics_fp16:                    ; @check_numerics_fp16
; %bb.0:
	s_load_dword s8, s[0:1], 0x20
	s_add_u32 s3, s0, 32
	s_addc_u32 s5, s1, 0
	v_mov_b32_e32 v7, 0
	v_mov_b32_e32 v3, v7
	s_waitcnt lgkmcnt(0)
	s_cmp_lt_u32 s2, s8
	s_cselect_b32 s4, 12, 18
	s_add_u32 s4, s3, s4
	s_addc_u32 s5, s5, 0
	global_load_ushort v1, v7, s[4:5]
	s_load_dwordx4 s[4:7], s[0:1], 0x8
	v_mov_b32_e32 v2, v7
	v_mov_b32_e32 v4, v7
	s_waitcnt vmcnt(0)
	v_mul_lo_u32 v5, s2, v1
	v_add_u32_e32 v6, v5, v0
	s_waitcnt lgkmcnt(0)
	v_cmp_gt_u64_e32 vcc, s[4:5], v[6:7]
	v_mov_b32_e32 v5, v7
	s_and_saveexec_b64 s[2:3], vcc
	s_cbranch_execz .LBB1_10
; %bb.1:
	s_load_dwordx2 s[10:11], s[0:1], 0x0
	v_mul_lo_u32 v4, s8, v1
	v_mov_b32_e32 v5, 0
	s_mov_b64 s[8:9], 0
	v_lshlrev_b64 v[8:9], 1, v[4:5]
	s_waitcnt lgkmcnt(0)
	v_lshl_add_u64 v[10:11], v[6:7], 1, s[10:11]
	v_mov_b32_e32 v1, 1
	s_movk_i32 s12, 0x204
	v_mov_b32_e32 v14, v5
	v_mov_b32_e32 v15, v5
	v_mov_b32_e32 v2, v5
	v_mov_b32_e32 v3, v5
	s_branch .LBB1_3
.LBB1_2:                                ;   in Loop: Header=BB1_3 Depth=1
	s_or_b64 exec, exec, s[10:11]
	v_cmp_lt_f16_e32 vcc, v14, v16
	v_lshl_add_u64 v[6:7], v[6:7], 0, v[4:5]
	v_and_b32_e32 v13, 0x7fffffff, v12
	v_cndmask_b32_e32 v14, v16, v14, vcc
	v_cmp_gt_f16_e32 vcc, v15, v16
	v_pk_add_f32 v[2:3], v[2:3], v[12:13]
	v_lshl_add_u64 v[10:11], v[10:11], 0, v[8:9]
	v_cndmask_b32_e32 v15, v16, v15, vcc
	v_cmp_le_u64_e32 vcc, s[4:5], v[6:7]
	s_or_b64 s[8:9], vcc, s[8:9]
	s_andn2_b64 exec, exec, s[8:9]
	s_cbranch_execz .LBB1_9
.LBB1_3:                                ; =>This Inner Loop Header: Depth=1
	global_load_ushort v16, v[10:11], off
	s_waitcnt vmcnt(0)
	v_cmp_eq_f16_e32 vcc, 0, v16
	s_and_saveexec_b64 s[10:11], vcc
	s_cbranch_execz .LBB1_5
; %bb.4:                                ;   in Loop: Header=BB1_3 Depth=1
	global_store_dword v5, v1, s[6:7] offset:16
.LBB1_5:                                ;   in Loop: Header=BB1_3 Depth=1
	s_or_b64 exec, exec, s[10:11]
	v_cmp_u_f16_e32 vcc, v16, v16
	s_and_saveexec_b64 s[10:11], vcc
	s_cbranch_execz .LBB1_7
; %bb.6:                                ;   in Loop: Header=BB1_3 Depth=1
	global_store_dword v5, v1, s[6:7] offset:20
.LBB1_7:                                ;   in Loop: Header=BB1_3 Depth=1
	s_or_b64 exec, exec, s[10:11]
	v_cvt_f32_f16_e32 v12, v16
	v_cmp_class_f32_e64 s[14:15], v12, s12
	s_and_saveexec_b64 s[10:11], s[14:15]
	s_cbranch_execz .LBB1_2
; %bb.8:                                ;   in Loop: Header=BB1_3 Depth=1
	global_store_dword v5, v1, s[6:7] offset:24
	s_branch .LBB1_2
.LBB1_9:
	s_or_b64 exec, exec, s[8:9]
	v_cvt_f32_f16_e32 v4, v14
	v_cvt_f32_f16_e32 v5, v15
.LBB1_10:
	s_or_b64 exec, exec, s[2:3]
	s_load_dword s0, s[0:1], 0x18
	s_waitcnt lgkmcnt(0)
	s_bitcmp1_b32 s0, 0
	s_cselect_b64 s[0:1], -1, 0
	s_and_b64 vcc, exec, s[0:1]
	s_cbranch_vccz .LBB1_38
; %bb.11:
	s_movk_i32 s0, 0x80
	v_lshlrev_b32_e32 v1, 4, v0
	v_cmp_gt_u32_e32 vcc, s0, v0
	ds_write_b128 v1, v[2:5]
	s_waitcnt lgkmcnt(0)
	s_barrier
	s_and_saveexec_b64 s[0:1], vcc
	s_cbranch_execz .LBB1_13
; %bb.12:
	ds_read_b128 v[2:5], v1 offset:2048
	ds_read_b128 v[6:9], v1
	s_waitcnt lgkmcnt(1)
	v_max_f32_e32 v4, v4, v4
	s_waitcnt lgkmcnt(0)
	v_pk_add_f32 v[2:3], v[2:3], v[6:7]
	v_max_f32_e32 v6, v8, v8
	v_max_f32_e32 v5, v5, v5
	v_min_f32_e32 v4, v6, v4
	v_max_f32_e32 v6, v9, v9
	v_max_f32_e32 v5, v6, v5
	ds_write_b128 v1, v[2:5]
.LBB1_13:
	s_or_b64 exec, exec, s[0:1]
	v_cmp_gt_u32_e32 vcc, 64, v0
	s_waitcnt lgkmcnt(0)
	s_barrier
	s_and_saveexec_b64 s[0:1], vcc
	s_cbranch_execz .LBB1_15
; %bb.14:
	ds_read_b128 v[2:5], v1 offset:1024
	ds_read_b128 v[6:9], v1
	s_waitcnt lgkmcnt(1)
	v_max_f32_e32 v4, v4, v4
	s_waitcnt lgkmcnt(0)
	v_pk_add_f32 v[2:3], v[2:3], v[6:7]
	v_max_f32_e32 v6, v8, v8
	v_max_f32_e32 v5, v5, v5
	v_min_f32_e32 v4, v6, v4
	v_max_f32_e32 v6, v9, v9
	v_max_f32_e32 v5, v6, v5
	ds_write_b128 v1, v[2:5]
.LBB1_15:
	s_or_b64 exec, exec, s[0:1]
	v_cmp_gt_u32_e32 vcc, 32, v0
	;; [unrolled: 20-line block ×6, first 2 shown]
	s_waitcnt lgkmcnt(0)
	s_barrier
	s_and_saveexec_b64 s[0:1], vcc
	s_cbranch_execz .LBB1_25
; %bb.24:
	ds_read_b128 v[2:5], v1
	ds_read_b128 v[6:9], v1 offset:32
	s_waitcnt lgkmcnt(1)
	v_max_f32_e32 v4, v4, v4
	s_waitcnt lgkmcnt(0)
	v_pk_add_f32 v[2:3], v[6:7], v[2:3]
	v_max_f32_e32 v6, v8, v8
	v_max_f32_e32 v7, v9, v9
	v_max_f32_e32 v5, v5, v5
	v_min_f32_e32 v4, v4, v6
	v_max_f32_e32 v5, v5, v7
	ds_write_b128 v1, v[2:5]
.LBB1_25:
	s_or_b64 exec, exec, s[0:1]
	v_cmp_eq_u32_e32 vcc, 0, v0
	s_waitcnt lgkmcnt(0)
	s_barrier
	s_and_saveexec_b64 s[0:1], vcc
	s_cbranch_execz .LBB1_27
; %bb.26:
	ds_read_b128 v[2:5], v1
	ds_read_b128 v[6:9], v1 offset:16
	s_waitcnt lgkmcnt(1)
	v_max_f32_e32 v4, v4, v4
	s_waitcnt lgkmcnt(0)
	v_max_f32_e32 v0, v8, v8
	v_pk_add_f32 v[2:3], v[6:7], v[2:3]
	v_max_f32_e32 v6, v9, v9
	v_min_f32_e32 v4, v4, v0
	v_max_f32_e32 v0, v5, v5
	v_max_f32_e32 v5, v0, v6
	ds_write_b128 v1, v[2:5]
.LBB1_27:
	s_or_b64 exec, exec, s[0:1]
	s_waitcnt lgkmcnt(0)
	s_barrier
	s_and_saveexec_b64 s[0:1], vcc
	s_cbranch_execz .LBB1_38
; %bb.28:
	s_mov_b64 s[2:3], exec
	v_mbcnt_lo_u32_b32 v0, s2, 0
	v_mbcnt_hi_u32_b32 v0, s3, v0
	v_cmp_eq_u32_e32 vcc, 0, v0
	s_and_saveexec_b64 s[0:1], vcc
	s_cbranch_execz .LBB1_30
; %bb.29:
	v_mov_b32_e32 v0, 0
	ds_read_b32 v1, v0
	s_bcnt1_i32_b64 s2, s[2:3]
	v_cvt_f32_ubyte0_e32 v2, s2
	s_waitcnt lgkmcnt(0)
	v_mul_f32_e32 v1, v1, v2
	global_atomic_add_f32 v0, v1, s[6:7]
.LBB1_30:
	s_or_b64 exec, exec, s[0:1]
	s_mov_b64 s[2:3], exec
	v_mbcnt_lo_u32_b32 v0, s2, 0
	v_mbcnt_hi_u32_b32 v0, s3, v0
	v_cmp_eq_u32_e32 vcc, 0, v0
	s_and_saveexec_b64 s[0:1], vcc
	s_cbranch_execz .LBB1_32
; %bb.31:
	v_mov_b32_e32 v0, 0
	ds_read_b32 v1, v0 offset:4
	s_bcnt1_i32_b64 s2, s[2:3]
	v_cvt_f32_ubyte0_e32 v2, s2
	s_waitcnt lgkmcnt(0)
	v_mul_f32_e32 v1, v1, v2
	global_atomic_add_f32 v0, v1, s[6:7] offset:4
.LBB1_32:
	s_or_b64 exec, exec, s[0:1]
	v_mbcnt_lo_u32_b32 v0, exec_lo, 0
	v_mbcnt_hi_u32_b32 v0, exec_hi, v0
	v_cmp_eq_u32_e32 vcc, 0, v0
	s_and_saveexec_b64 s[0:1], vcc
	s_cbranch_execz .LBB1_35
; %bb.33:
	v_mov_b32_e32 v2, 0
	s_load_dword s4, s[6:7], 0x8
	ds_read_b32 v0, v2 offset:8
	s_mov_b64 s[2:3], 0
	s_waitcnt lgkmcnt(0)
	v_mov_b32_e32 v1, s4
	v_max_f32_e32 v3, v0, v0
.LBB1_34:                               ; =>This Inner Loop Header: Depth=1
	v_max_f32_e32 v0, v1, v1
	v_min_f32_e32 v0, v0, v3
	global_atomic_cmpswap v0, v2, v[0:1], s[6:7] offset:8 sc0
	s_waitcnt vmcnt(0)
	v_cmp_eq_u32_e32 vcc, v0, v1
	s_or_b64 s[2:3], vcc, s[2:3]
	v_mov_b32_e32 v1, v0
	s_andn2_b64 exec, exec, s[2:3]
	s_cbranch_execnz .LBB1_34
.LBB1_35:
	s_or_b64 exec, exec, s[0:1]
	v_mbcnt_lo_u32_b32 v0, exec_lo, 0
	v_mbcnt_hi_u32_b32 v0, exec_hi, v0
	v_cmp_eq_u32_e32 vcc, 0, v0
	s_and_b64 exec, exec, vcc
	s_cbranch_execz .LBB1_38
; %bb.36:
	v_mov_b32_e32 v2, 0
	s_load_dword s2, s[6:7], 0xc
	ds_read_b32 v0, v2 offset:12
	s_mov_b64 s[0:1], 0
	s_waitcnt lgkmcnt(0)
	v_mov_b32_e32 v1, s2
	v_max_f32_e32 v3, v0, v0
.LBB1_37:                               ; =>This Inner Loop Header: Depth=1
	v_max_f32_e32 v0, v1, v1
	v_max_f32_e32 v0, v0, v3
	global_atomic_cmpswap v0, v2, v[0:1], s[6:7] offset:12 sc0
	s_waitcnt vmcnt(0)
	v_cmp_eq_u32_e32 vcc, v0, v1
	s_or_b64 s[0:1], vcc, s[0:1]
	v_mov_b32_e32 v1, v0
	s_andn2_b64 exec, exec, s[0:1]
	s_cbranch_execnz .LBB1_37
.LBB1_38:
	s_endpgm
	.section	.rodata,"a",@progbits
	.p2align	6, 0x0
	.amdhsa_kernel check_numerics_fp16
		.amdhsa_group_segment_fixed_size 4096
		.amdhsa_private_segment_fixed_size 0
		.amdhsa_kernarg_size 288
		.amdhsa_user_sgpr_count 2
		.amdhsa_user_sgpr_dispatch_ptr 0
		.amdhsa_user_sgpr_queue_ptr 0
		.amdhsa_user_sgpr_kernarg_segment_ptr 1
		.amdhsa_user_sgpr_dispatch_id 0
		.amdhsa_user_sgpr_kernarg_preload_length 0
		.amdhsa_user_sgpr_kernarg_preload_offset 0
		.amdhsa_user_sgpr_private_segment_size 0
		.amdhsa_uses_dynamic_stack 0
		.amdhsa_enable_private_segment 0
		.amdhsa_system_sgpr_workgroup_id_x 1
		.amdhsa_system_sgpr_workgroup_id_y 0
		.amdhsa_system_sgpr_workgroup_id_z 0
		.amdhsa_system_sgpr_workgroup_info 0
		.amdhsa_system_vgpr_workitem_id 0
		.amdhsa_next_free_vgpr 17
		.amdhsa_next_free_sgpr 16
		.amdhsa_accum_offset 20
		.amdhsa_reserve_vcc 1
		.amdhsa_float_round_mode_32 0
		.amdhsa_float_round_mode_16_64 0
		.amdhsa_float_denorm_mode_32 3
		.amdhsa_float_denorm_mode_16_64 3
		.amdhsa_dx10_clamp 1
		.amdhsa_ieee_mode 1
		.amdhsa_fp16_overflow 0
		.amdhsa_tg_split 0
		.amdhsa_exception_fp_ieee_invalid_op 0
		.amdhsa_exception_fp_denorm_src 0
		.amdhsa_exception_fp_ieee_div_zero 0
		.amdhsa_exception_fp_ieee_overflow 0
		.amdhsa_exception_fp_ieee_underflow 0
		.amdhsa_exception_fp_ieee_inexact 0
		.amdhsa_exception_int_div_zero 0
	.end_amdhsa_kernel
	.text
.Lfunc_end1:
	.size	check_numerics_fp16, .Lfunc_end1-check_numerics_fp16
                                        ; -- End function
	.set check_numerics_fp16.num_vgpr, 17
	.set check_numerics_fp16.num_agpr, 0
	.set check_numerics_fp16.numbered_sgpr, 16
	.set check_numerics_fp16.num_named_barrier, 0
	.set check_numerics_fp16.private_seg_size, 0
	.set check_numerics_fp16.uses_vcc, 1
	.set check_numerics_fp16.uses_flat_scratch, 0
	.set check_numerics_fp16.has_dyn_sized_stack, 0
	.set check_numerics_fp16.has_recursion, 0
	.set check_numerics_fp16.has_indirect_call, 0
	.section	.AMDGPU.csdata,"",@progbits
; Kernel info:
; codeLenInByte = 1476
; TotalNumSgprs: 22
; NumVgprs: 17
; NumAgprs: 0
; TotalNumVgprs: 17
; ScratchSize: 0
; MemoryBound: 0
; FloatMode: 240
; IeeeMode: 1
; LDSByteSize: 4096 bytes/workgroup (compile time only)
; SGPRBlocks: 2
; VGPRBlocks: 2
; NumSGPRsForWavesPerEU: 22
; NumVGPRsForWavesPerEU: 17
; AccumOffset: 20
; Occupancy: 8
; WaveLimiterHint : 0
; COMPUTE_PGM_RSRC2:SCRATCH_EN: 0
; COMPUTE_PGM_RSRC2:USER_SGPR: 2
; COMPUTE_PGM_RSRC2:TRAP_HANDLER: 0
; COMPUTE_PGM_RSRC2:TGID_X_EN: 1
; COMPUTE_PGM_RSRC2:TGID_Y_EN: 0
; COMPUTE_PGM_RSRC2:TGID_Z_EN: 0
; COMPUTE_PGM_RSRC2:TIDIG_COMP_CNT: 0
; COMPUTE_PGM_RSRC3_GFX90A:ACCUM_OFFSET: 4
; COMPUTE_PGM_RSRC3_GFX90A:TG_SPLIT: 0
	.text
	.protected	check_numerics_bf16     ; -- Begin function check_numerics_bf16
	.globl	check_numerics_bf16
	.p2align	8
	.type	check_numerics_bf16,@function
check_numerics_bf16:                    ; @check_numerics_bf16
; %bb.0:
	s_load_dword s8, s[0:1], 0x20
	s_add_u32 s3, s0, 32
	s_addc_u32 s5, s1, 0
	v_mov_b32_e32 v7, 0
	v_mov_b32_e32 v5, v7
	s_waitcnt lgkmcnt(0)
	s_cmp_lt_u32 s2, s8
	s_cselect_b32 s4, 12, 18
	s_add_u32 s4, s3, s4
	s_addc_u32 s5, s5, 0
	global_load_ushort v1, v7, s[4:5]
	s_load_dwordx4 s[4:7], s[0:1], 0x8
	v_mov_b32_e32 v4, v7
	v_mov_b32_e32 v3, v7
	s_waitcnt vmcnt(0)
	v_mul_lo_u32 v2, s2, v1
	v_add_u32_e32 v6, v2, v0
	s_waitcnt lgkmcnt(0)
	v_cmp_gt_u64_e32 vcc, s[4:5], v[6:7]
	v_mov_b32_e32 v2, v7
	s_and_saveexec_b64 s[2:3], vcc
	s_cbranch_execz .LBB2_10
; %bb.1:
	s_load_dwordx2 s[10:11], s[0:1], 0x0
	v_mul_lo_u32 v4, s8, v1
	v_mov_b32_e32 v5, 0
	s_mov_b64 s[8:9], 0
	v_lshlrev_b64 v[8:9], 1, v[4:5]
	s_waitcnt lgkmcnt(0)
	v_lshl_add_u64 v[10:11], v[6:7], 1, s[10:11]
	s_mov_b32 s12, 0x5040100
	v_mov_b32_e32 v1, 1
	s_movk_i32 s13, 0x204
	v_mov_b32_e32 v14, v5
	v_mov_b32_e32 v2, v5
	;; [unrolled: 1-line block ×3, first 2 shown]
	s_branch .LBB2_3
.LBB2_2:                                ;   in Loop: Header=BB2_3 Depth=1
	s_or_b64 exec, exec, s[10:11]
	v_perm_b32 v15, v13, v14, s12
	v_and_b32_e32 v17, 0xffff0000, v14
	v_and_b32_e32 v13, 0x7fffffff, v12
	v_lshlrev_b32_e32 v16, 16, v14
	v_and_b32_e32 v18, 0xffff0000, v15
	v_pk_add_f32 v[2:3], v[2:3], v[12:13]
	v_lshrrev_b32_e32 v13, 16, v14
	v_lshrrev_b32_e32 v15, 16, v15
	v_cmp_lt_f32_e32 vcc, v12, v17
	v_lshl_add_u64 v[6:7], v[6:7], 0, v[4:5]
	v_lshl_add_u64 v[10:11], v[10:11], 0, v[8:9]
	v_cndmask_b32_e32 v12, v15, v13, vcc
	v_cmp_lt_f32_e32 vcc, v16, v18
	s_nop 1
	v_cndmask_b32_e32 v13, v15, v14, vcc
	v_cmp_le_u64_e32 vcc, s[4:5], v[6:7]
	v_perm_b32 v14, v12, v13, s12
	s_or_b64 s[8:9], vcc, s[8:9]
	s_andn2_b64 exec, exec, s[8:9]
	s_cbranch_execz .LBB2_9
.LBB2_3:                                ; =>This Inner Loop Header: Depth=1
	global_load_ushort v13, v[10:11], off
	s_waitcnt vmcnt(0)
	v_lshlrev_b32_e32 v12, 16, v13
	v_cmp_eq_f32_e32 vcc, 0, v12
	s_and_saveexec_b64 s[10:11], vcc
	s_cbranch_execnz .LBB2_6
; %bb.4:                                ;   in Loop: Header=BB2_3 Depth=1
	s_or_b64 exec, exec, s[10:11]
	v_cmp_u_f32_e32 vcc, v12, v12
	s_and_saveexec_b64 s[10:11], vcc
	s_cbranch_execnz .LBB2_7
.LBB2_5:                                ;   in Loop: Header=BB2_3 Depth=1
	s_or_b64 exec, exec, s[10:11]
	v_cmp_class_f32_e64 s[14:15], v12, s13
	s_and_saveexec_b64 s[10:11], s[14:15]
	s_cbranch_execz .LBB2_2
	s_branch .LBB2_8
.LBB2_6:                                ;   in Loop: Header=BB2_3 Depth=1
	global_store_dword v5, v1, s[6:7] offset:16
	s_or_b64 exec, exec, s[10:11]
	v_cmp_u_f32_e32 vcc, v12, v12
	s_and_saveexec_b64 s[10:11], vcc
	s_cbranch_execz .LBB2_5
.LBB2_7:                                ;   in Loop: Header=BB2_3 Depth=1
	global_store_dword v5, v1, s[6:7] offset:20
	s_or_b64 exec, exec, s[10:11]
	v_cmp_class_f32_e64 s[14:15], v12, s13
	s_and_saveexec_b64 s[10:11], s[14:15]
	s_cbranch_execz .LBB2_2
.LBB2_8:                                ;   in Loop: Header=BB2_3 Depth=1
	global_store_dword v5, v1, s[6:7] offset:24
	s_branch .LBB2_2
.LBB2_9:
	s_or_b64 exec, exec, s[8:9]
	v_and_b32_e32 v5, 0xffff0000, v14
	v_lshlrev_b32_e32 v4, 16, v14
.LBB2_10:
	s_or_b64 exec, exec, s[2:3]
	s_load_dword s0, s[0:1], 0x18
	s_waitcnt lgkmcnt(0)
	s_bitcmp1_b32 s0, 0
	s_cselect_b64 s[0:1], -1, 0
	s_and_b64 vcc, exec, s[0:1]
	s_cbranch_vccz .LBB2_38
; %bb.11:
	s_movk_i32 s0, 0x80
	v_lshlrev_b32_e32 v1, 4, v0
	v_cmp_gt_u32_e32 vcc, s0, v0
	ds_write_b128 v1, v[2:5]
	s_waitcnt lgkmcnt(0)
	s_barrier
	s_and_saveexec_b64 s[0:1], vcc
	s_cbranch_execz .LBB2_13
; %bb.12:
	ds_read_b128 v[2:5], v1 offset:2048
	ds_read_b128 v[6:9], v1
	s_waitcnt lgkmcnt(1)
	v_max_f32_e32 v4, v4, v4
	s_waitcnt lgkmcnt(0)
	v_pk_add_f32 v[2:3], v[2:3], v[6:7]
	v_max_f32_e32 v6, v8, v8
	v_max_f32_e32 v5, v5, v5
	v_min_f32_e32 v4, v6, v4
	v_max_f32_e32 v6, v9, v9
	v_max_f32_e32 v5, v6, v5
	ds_write_b128 v1, v[2:5]
.LBB2_13:
	s_or_b64 exec, exec, s[0:1]
	v_cmp_gt_u32_e32 vcc, 64, v0
	s_waitcnt lgkmcnt(0)
	s_barrier
	s_and_saveexec_b64 s[0:1], vcc
	s_cbranch_execz .LBB2_15
; %bb.14:
	ds_read_b128 v[2:5], v1 offset:1024
	ds_read_b128 v[6:9], v1
	s_waitcnt lgkmcnt(1)
	v_max_f32_e32 v4, v4, v4
	s_waitcnt lgkmcnt(0)
	v_pk_add_f32 v[2:3], v[2:3], v[6:7]
	v_max_f32_e32 v6, v8, v8
	v_max_f32_e32 v5, v5, v5
	v_min_f32_e32 v4, v6, v4
	v_max_f32_e32 v6, v9, v9
	v_max_f32_e32 v5, v6, v5
	ds_write_b128 v1, v[2:5]
.LBB2_15:
	s_or_b64 exec, exec, s[0:1]
	v_cmp_gt_u32_e32 vcc, 32, v0
	;; [unrolled: 20-line block ×6, first 2 shown]
	s_waitcnt lgkmcnt(0)
	s_barrier
	s_and_saveexec_b64 s[0:1], vcc
	s_cbranch_execz .LBB2_25
; %bb.24:
	ds_read_b128 v[2:5], v1
	ds_read_b128 v[6:9], v1 offset:32
	s_waitcnt lgkmcnt(1)
	v_max_f32_e32 v4, v4, v4
	s_waitcnt lgkmcnt(0)
	v_pk_add_f32 v[2:3], v[6:7], v[2:3]
	v_max_f32_e32 v6, v8, v8
	v_max_f32_e32 v7, v9, v9
	;; [unrolled: 1-line block ×3, first 2 shown]
	v_min_f32_e32 v4, v4, v6
	v_max_f32_e32 v5, v5, v7
	ds_write_b128 v1, v[2:5]
.LBB2_25:
	s_or_b64 exec, exec, s[0:1]
	v_cmp_eq_u32_e32 vcc, 0, v0
	s_waitcnt lgkmcnt(0)
	s_barrier
	s_and_saveexec_b64 s[0:1], vcc
	s_cbranch_execz .LBB2_27
; %bb.26:
	ds_read_b128 v[2:5], v1
	ds_read_b128 v[6:9], v1 offset:16
	s_waitcnt lgkmcnt(1)
	v_max_f32_e32 v4, v4, v4
	s_waitcnt lgkmcnt(0)
	v_max_f32_e32 v0, v8, v8
	v_pk_add_f32 v[2:3], v[6:7], v[2:3]
	v_max_f32_e32 v6, v9, v9
	v_min_f32_e32 v4, v4, v0
	v_max_f32_e32 v0, v5, v5
	v_max_f32_e32 v5, v0, v6
	ds_write_b128 v1, v[2:5]
.LBB2_27:
	s_or_b64 exec, exec, s[0:1]
	s_waitcnt lgkmcnt(0)
	s_barrier
	s_and_saveexec_b64 s[0:1], vcc
	s_cbranch_execz .LBB2_38
; %bb.28:
	s_mov_b64 s[2:3], exec
	v_mbcnt_lo_u32_b32 v0, s2, 0
	v_mbcnt_hi_u32_b32 v0, s3, v0
	v_cmp_eq_u32_e32 vcc, 0, v0
	s_and_saveexec_b64 s[0:1], vcc
	s_cbranch_execz .LBB2_30
; %bb.29:
	v_mov_b32_e32 v0, 0
	ds_read_b32 v1, v0
	s_bcnt1_i32_b64 s2, s[2:3]
	v_cvt_f32_ubyte0_e32 v2, s2
	s_waitcnt lgkmcnt(0)
	v_mul_f32_e32 v1, v1, v2
	global_atomic_add_f32 v0, v1, s[6:7]
.LBB2_30:
	s_or_b64 exec, exec, s[0:1]
	s_mov_b64 s[2:3], exec
	v_mbcnt_lo_u32_b32 v0, s2, 0
	v_mbcnt_hi_u32_b32 v0, s3, v0
	v_cmp_eq_u32_e32 vcc, 0, v0
	s_and_saveexec_b64 s[0:1], vcc
	s_cbranch_execz .LBB2_32
; %bb.31:
	v_mov_b32_e32 v0, 0
	ds_read_b32 v1, v0 offset:4
	s_bcnt1_i32_b64 s2, s[2:3]
	v_cvt_f32_ubyte0_e32 v2, s2
	s_waitcnt lgkmcnt(0)
	v_mul_f32_e32 v1, v1, v2
	global_atomic_add_f32 v0, v1, s[6:7] offset:4
.LBB2_32:
	s_or_b64 exec, exec, s[0:1]
	v_mbcnt_lo_u32_b32 v0, exec_lo, 0
	v_mbcnt_hi_u32_b32 v0, exec_hi, v0
	v_cmp_eq_u32_e32 vcc, 0, v0
	s_and_saveexec_b64 s[0:1], vcc
	s_cbranch_execz .LBB2_35
; %bb.33:
	v_mov_b32_e32 v2, 0
	s_load_dword s4, s[6:7], 0x8
	ds_read_b32 v0, v2 offset:8
	s_mov_b64 s[2:3], 0
	s_waitcnt lgkmcnt(0)
	v_mov_b32_e32 v1, s4
	v_max_f32_e32 v3, v0, v0
.LBB2_34:                               ; =>This Inner Loop Header: Depth=1
	v_max_f32_e32 v0, v1, v1
	v_min_f32_e32 v0, v0, v3
	global_atomic_cmpswap v0, v2, v[0:1], s[6:7] offset:8 sc0
	s_waitcnt vmcnt(0)
	v_cmp_eq_u32_e32 vcc, v0, v1
	s_or_b64 s[2:3], vcc, s[2:3]
	v_mov_b32_e32 v1, v0
	s_andn2_b64 exec, exec, s[2:3]
	s_cbranch_execnz .LBB2_34
.LBB2_35:
	s_or_b64 exec, exec, s[0:1]
	v_mbcnt_lo_u32_b32 v0, exec_lo, 0
	v_mbcnt_hi_u32_b32 v0, exec_hi, v0
	v_cmp_eq_u32_e32 vcc, 0, v0
	s_and_b64 exec, exec, vcc
	s_cbranch_execz .LBB2_38
; %bb.36:
	v_mov_b32_e32 v2, 0
	s_load_dword s2, s[6:7], 0xc
	ds_read_b32 v0, v2 offset:12
	s_mov_b64 s[0:1], 0
	s_waitcnt lgkmcnt(0)
	v_mov_b32_e32 v1, s2
	v_max_f32_e32 v3, v0, v0
.LBB2_37:                               ; =>This Inner Loop Header: Depth=1
	v_max_f32_e32 v0, v1, v1
	v_max_f32_e32 v0, v0, v3
	global_atomic_cmpswap v0, v2, v[0:1], s[6:7] offset:12 sc0
	s_waitcnt vmcnt(0)
	v_cmp_eq_u32_e32 vcc, v0, v1
	s_or_b64 s[0:1], vcc, s[0:1]
	v_mov_b32_e32 v1, v0
	s_andn2_b64 exec, exec, s[0:1]
	s_cbranch_execnz .LBB2_37
.LBB2_38:
	s_endpgm
	.section	.rodata,"a",@progbits
	.p2align	6, 0x0
	.amdhsa_kernel check_numerics_bf16
		.amdhsa_group_segment_fixed_size 4096
		.amdhsa_private_segment_fixed_size 0
		.amdhsa_kernarg_size 288
		.amdhsa_user_sgpr_count 2
		.amdhsa_user_sgpr_dispatch_ptr 0
		.amdhsa_user_sgpr_queue_ptr 0
		.amdhsa_user_sgpr_kernarg_segment_ptr 1
		.amdhsa_user_sgpr_dispatch_id 0
		.amdhsa_user_sgpr_kernarg_preload_length 0
		.amdhsa_user_sgpr_kernarg_preload_offset 0
		.amdhsa_user_sgpr_private_segment_size 0
		.amdhsa_uses_dynamic_stack 0
		.amdhsa_enable_private_segment 0
		.amdhsa_system_sgpr_workgroup_id_x 1
		.amdhsa_system_sgpr_workgroup_id_y 0
		.amdhsa_system_sgpr_workgroup_id_z 0
		.amdhsa_system_sgpr_workgroup_info 0
		.amdhsa_system_vgpr_workitem_id 0
		.amdhsa_next_free_vgpr 19
		.amdhsa_next_free_sgpr 16
		.amdhsa_accum_offset 20
		.amdhsa_reserve_vcc 1
		.amdhsa_float_round_mode_32 0
		.amdhsa_float_round_mode_16_64 0
		.amdhsa_float_denorm_mode_32 3
		.amdhsa_float_denorm_mode_16_64 3
		.amdhsa_dx10_clamp 1
		.amdhsa_ieee_mode 1
		.amdhsa_fp16_overflow 0
		.amdhsa_tg_split 0
		.amdhsa_exception_fp_ieee_invalid_op 0
		.amdhsa_exception_fp_denorm_src 0
		.amdhsa_exception_fp_ieee_div_zero 0
		.amdhsa_exception_fp_ieee_overflow 0
		.amdhsa_exception_fp_ieee_underflow 0
		.amdhsa_exception_fp_ieee_inexact 0
		.amdhsa_exception_int_div_zero 0
	.end_amdhsa_kernel
	.text
.Lfunc_end2:
	.size	check_numerics_bf16, .Lfunc_end2-check_numerics_bf16
                                        ; -- End function
	.set check_numerics_bf16.num_vgpr, 19
	.set check_numerics_bf16.num_agpr, 0
	.set check_numerics_bf16.numbered_sgpr, 16
	.set check_numerics_bf16.num_named_barrier, 0
	.set check_numerics_bf16.private_seg_size, 0
	.set check_numerics_bf16.uses_vcc, 1
	.set check_numerics_bf16.uses_flat_scratch, 0
	.set check_numerics_bf16.has_dyn_sized_stack, 0
	.set check_numerics_bf16.has_recursion, 0
	.set check_numerics_bf16.has_indirect_call, 0
	.section	.AMDGPU.csdata,"",@progbits
; Kernel info:
; codeLenInByte = 1572
; TotalNumSgprs: 22
; NumVgprs: 19
; NumAgprs: 0
; TotalNumVgprs: 19
; ScratchSize: 0
; MemoryBound: 0
; FloatMode: 240
; IeeeMode: 1
; LDSByteSize: 4096 bytes/workgroup (compile time only)
; SGPRBlocks: 2
; VGPRBlocks: 2
; NumSGPRsForWavesPerEU: 22
; NumVGPRsForWavesPerEU: 19
; AccumOffset: 20
; Occupancy: 8
; WaveLimiterHint : 0
; COMPUTE_PGM_RSRC2:SCRATCH_EN: 0
; COMPUTE_PGM_RSRC2:USER_SGPR: 2
; COMPUTE_PGM_RSRC2:TRAP_HANDLER: 0
; COMPUTE_PGM_RSRC2:TGID_X_EN: 1
; COMPUTE_PGM_RSRC2:TGID_Y_EN: 0
; COMPUTE_PGM_RSRC2:TGID_Z_EN: 0
; COMPUTE_PGM_RSRC2:TIDIG_COMP_CNT: 0
; COMPUTE_PGM_RSRC3_GFX90A:ACCUM_OFFSET: 4
; COMPUTE_PGM_RSRC3_GFX90A:TG_SPLIT: 0
	.text
	.protected	check_numerics_fp8      ; -- Begin function check_numerics_fp8
	.globl	check_numerics_fp8
	.p2align	8
	.type	check_numerics_fp8,@function
check_numerics_fp8:                     ; @check_numerics_fp8
; %bb.0:
	s_load_dword s3, s[0:1], 0x20
	s_load_dwordx4 s[8:11], s[0:1], 0x8
	s_add_u32 s4, s0, 32
	s_addc_u32 s5, s1, 0
	v_mov_b32_e32 v3, 0
	s_waitcnt lgkmcnt(0)
	s_cmp_lt_u32 s2, s3
	s_cselect_b32 s6, 12, 18
	s_add_u32 s4, s4, s6
	s_addc_u32 s5, s5, 0
	global_load_ushort v5, v3, s[4:5]
	v_mov_b32_e32 v1, 8
	v_mov_b32_e32 v10, 0x7f
	;; [unrolled: 1-line block ×3, first 2 shown]
	s_waitcnt vmcnt(0)
	v_mul_lo_u32 v2, s2, v5
	v_add_u32_e32 v2, v2, v0
	v_cmp_gt_u64_e32 vcc, s[8:9], v[2:3]
	s_and_saveexec_b64 s[6:7], vcc
	s_cbranch_execz .LBB3_66
; %bb.1:
	s_load_dwordx2 s[12:13], s[0:1], 0x0
	v_mov_b32_e32 v9, 0
	v_mov_b64_e32 v[6:7], v[2:3]
	v_mul_lo_u32 v8, s3, v5
	v_mov_b32_e32 v1, 8
	v_mov_b32_e32 v10, 0x7f
	s_mov_b64 s[14:15], 0
	s_movk_i32 s22, 0x7f
	s_movk_i32 s23, 0x80
	v_mov_b32_e32 v2, 1
	s_movk_i32 s24, 0x204
	v_mov_b32_e32 v5, 0x3b800000
	v_mov_b32_e32 v4, v9
	;; [unrolled: 1-line block ×3, first 2 shown]
	s_branch .LBB3_3
.LBB3_2:                                ;   in Loop: Header=BB3_3 Depth=1
	s_or_b64 exec, exec, s[2:3]
	v_cmp_gt_f32_e32 vcc, v16, v17
	v_lshl_add_u64 v[6:7], v[6:7], 0, v[8:9]
	v_add_f32_e32 v3, v3, v13
	v_cndmask_b32_e32 v1, v11, v1, vcc
	v_cmp_lt_f32_e32 vcc, v14, v15
	v_add_f32_e32 v4, v4, v12
	s_nop 0
	v_cndmask_b32_e32 v10, v11, v10, vcc
	v_cmp_le_u64_e32 vcc, s[8:9], v[6:7]
	s_or_b64 s[14:15], vcc, s[14:15]
	s_andn2_b64 exec, exec, s[14:15]
	s_cbranch_execz .LBB3_65
.LBB3_3:                                ; =>This Inner Loop Header: Depth=1
	s_waitcnt lgkmcnt(0)
	v_lshl_add_u64 v[12:13], s[12:13], 0, v[6:7]
	global_load_ubyte v11, v[12:13], off
	s_mov_b64 s[2:3], 0
	s_waitcnt vmcnt(0)
	v_cmp_lt_i16_e32 vcc, s22, v11
	s_and_saveexec_b64 s[4:5], vcc
	s_xor_b64 s[4:5], exec, s[4:5]
	s_cbranch_execz .LBB3_7
; %bb.4:                                ;   in Loop: Header=BB3_3 Depth=1
	v_cmp_eq_u16_e32 vcc, s23, v11
	s_mov_b64 s[2:3], -1
	s_and_saveexec_b64 s[16:17], vcc
; %bb.5:                                ;   in Loop: Header=BB3_3 Depth=1
	s_xor_b64 s[2:3], exec, -1
; %bb.6:                                ;   in Loop: Header=BB3_3 Depth=1
	s_or_b64 exec, exec, s[16:17]
	s_and_b64 s[2:3], s[2:3], exec
.LBB3_7:                                ;   in Loop: Header=BB3_3 Depth=1
	s_or_saveexec_b64 s[4:5], s[4:5]
	v_mov_b32_e32 v12, 0x7f800001
	v_cmp_ne_u16_e32 vcc, 0, v11
	s_xor_b64 exec, exec, s[4:5]
; %bb.8:                                ;   in Loop: Header=BB3_3 Depth=1
	s_andn2_b64 s[2:3], s[2:3], exec
	s_and_b64 s[16:17], vcc, exec
	v_mov_b32_e32 v12, 0
	s_or_b64 s[2:3], s[2:3], s[16:17]
; %bb.9:                                ;   in Loop: Header=BB3_3 Depth=1
	s_or_b64 exec, exec, s[4:5]
	s_and_saveexec_b64 s[4:5], s[2:3]
	s_cbranch_execz .LBB3_11
; %bb.10:                               ;   in Loop: Header=BB3_3 Depth=1
	v_and_b32_e32 v13, 0xffff, v11
	v_and_b32_e32 v14, 7, v13
	v_ffbh_u32_e32 v16, v14
	v_subrev_u32_e32 v17, 28, v16
	v_bfe_u32 v15, v13, 3, 4
	v_lshlrev_b32_e32 v13, v17, v13
	v_sub_u32_e32 v16, 29, v16
	v_and_b32_e32 v13, 7, v13
	v_cmp_eq_u32_e64 s[2:3], 0, v15
	v_lshlrev_b32_e32 v12, 24, v11
	v_and_b32_e32 v12, 0x80000000, v12
	v_cndmask_b32_e64 v13, v14, v13, s[2:3]
	v_cndmask_b32_e64 v14, v15, v16, s[2:3]
	v_lshlrev_b32_e32 v13, 20, v13
	v_lshl_add_u32 v14, v14, 23, v5
	v_or3_b32 v12, v12, v14, v13
.LBB3_11:                               ;   in Loop: Header=BB3_3 Depth=1
	s_or_b64 exec, exec, s[4:5]
	v_cmp_lt_i16_e64 s[2:3], s22, v11
	s_mov_b64 s[4:5], 0
	s_and_saveexec_b64 s[16:17], s[2:3]
	s_xor_b64 s[16:17], exec, s[16:17]
	s_cbranch_execnz .LBB3_37
; %bb.12:                               ;   in Loop: Header=BB3_3 Depth=1
	s_or_saveexec_b64 s[2:3], s[16:17]
	v_mov_b32_e32 v13, 0x7f800001
	s_xor_b64 exec, exec, s[2:3]
	s_cbranch_execnz .LBB3_40
.LBB3_13:                               ;   in Loop: Header=BB3_3 Depth=1
	s_or_b64 exec, exec, s[2:3]
	s_and_saveexec_b64 s[16:17], s[4:5]
	s_cbranch_execz .LBB3_15
.LBB3_14:                               ;   in Loop: Header=BB3_3 Depth=1
	v_and_b32_e32 v14, 0xffff, v11
	v_and_b32_e32 v15, 7, v14
	v_ffbh_u32_e32 v17, v15
	v_subrev_u32_e32 v18, 28, v17
	v_bfe_u32 v16, v14, 3, 4
	v_lshlrev_b32_e32 v14, v18, v14
	v_sub_u32_e32 v17, 29, v17
	v_and_b32_e32 v14, 7, v14
	v_cmp_eq_u32_e64 s[2:3], 0, v16
	v_lshlrev_b32_e32 v13, 24, v11
	v_and_b32_e32 v13, 0x80000000, v13
	v_cndmask_b32_e64 v14, v15, v14, s[2:3]
	v_cndmask_b32_e64 v15, v16, v17, s[2:3]
	v_lshlrev_b32_e32 v14, 20, v14
	v_lshl_add_u32 v15, v15, 23, v5
	v_or3_b32 v13, v13, v15, v14
	v_and_b32_e32 v13, 0x7fffffff, v13
.LBB3_15:                               ;   in Loop: Header=BB3_3 Depth=1
	s_or_b64 exec, exec, s[16:17]
	v_cmp_gt_i16_sdwa s[4:5], v10, s22 src0_sel:BYTE_0 src1_sel:DWORD
	s_mov_b64 s[2:3], 0
	s_and_saveexec_b64 s[16:17], s[4:5]
	s_xor_b64 s[4:5], exec, s[16:17]
	s_cbranch_execnz .LBB3_41
; %bb.16:                               ;   in Loop: Header=BB3_3 Depth=1
	s_or_saveexec_b64 s[4:5], s[4:5]
	v_mov_b32_e32 v14, 0x7f800001
	s_xor_b64 exec, exec, s[4:5]
	s_cbranch_execnz .LBB3_44
.LBB3_17:                               ;   in Loop: Header=BB3_3 Depth=1
	s_or_b64 exec, exec, s[4:5]
	s_and_saveexec_b64 s[4:5], s[2:3]
	s_cbranch_execz .LBB3_19
.LBB3_18:                               ;   in Loop: Header=BB3_3 Depth=1
	v_and_b32_e32 v15, 7, v10
	v_ffbh_u32_e32 v16, v15
	v_lshrrev_b16_e32 v14, 3, v10
	v_subrev_u32_e32 v17, 28, v16
	v_and_b32_e32 v14, 15, v14
	v_lshlrev_b32_e32 v17, v17, v10
	v_sub_u32_e32 v16, 29, v16
	v_and_b32_e32 v17, 7, v17
	v_cmp_eq_u32_e64 s[2:3], 0, v14
	s_nop 1
	v_cndmask_b32_e64 v15, v15, v17, s[2:3]
	v_cndmask_b32_e64 v14, v14, v16, s[2:3]
	v_lshlrev_b32_e32 v16, 24, v10
	v_lshlrev_b32_e32 v15, 20, v15
	v_and_b32_e32 v16, 0x80000000, v16
	v_lshl_add_u32 v14, v14, 23, v5
	v_or3_b32 v14, v16, v14, v15
.LBB3_19:                               ;   in Loop: Header=BB3_3 Depth=1
	s_or_b64 exec, exec, s[4:5]
	v_cmp_lt_i16_e64 s[2:3], s22, v11
	s_mov_b64 s[4:5], 0
	s_and_saveexec_b64 s[16:17], s[2:3]
	s_xor_b64 s[16:17], exec, s[16:17]
	s_cbranch_execnz .LBB3_45
; %bb.20:                               ;   in Loop: Header=BB3_3 Depth=1
	s_or_saveexec_b64 s[2:3], s[16:17]
	v_mov_b32_e32 v15, 0x7f800001
	s_xor_b64 exec, exec, s[2:3]
	s_cbranch_execnz .LBB3_48
.LBB3_21:                               ;   in Loop: Header=BB3_3 Depth=1
	s_or_b64 exec, exec, s[2:3]
	s_and_saveexec_b64 s[16:17], s[4:5]
	s_cbranch_execz .LBB3_23
.LBB3_22:                               ;   in Loop: Header=BB3_3 Depth=1
	v_and_b32_e32 v16, 0xffff, v11
	v_and_b32_e32 v17, 7, v16
	v_ffbh_u32_e32 v19, v17
	v_subrev_u32_e32 v20, 28, v19
	v_bfe_u32 v18, v16, 3, 4
	v_lshlrev_b32_e32 v16, v20, v16
	v_sub_u32_e32 v19, 29, v19
	v_and_b32_e32 v16, 7, v16
	v_cmp_eq_u32_e64 s[2:3], 0, v18
	v_lshlrev_b32_e32 v15, 24, v11
	v_and_b32_e32 v15, 0x80000000, v15
	v_cndmask_b32_e64 v16, v17, v16, s[2:3]
	v_cndmask_b32_e64 v17, v18, v19, s[2:3]
	v_lshlrev_b32_e32 v16, 20, v16
	v_lshl_add_u32 v17, v17, 23, v5
	v_or3_b32 v15, v15, v17, v16
.LBB3_23:                               ;   in Loop: Header=BB3_3 Depth=1
	s_or_b64 exec, exec, s[16:17]
	v_cmp_gt_i16_sdwa s[4:5], v1, s22 src0_sel:BYTE_0 src1_sel:DWORD
	s_mov_b64 s[2:3], 0
	s_and_saveexec_b64 s[16:17], s[4:5]
	s_xor_b64 s[4:5], exec, s[16:17]
	s_cbranch_execnz .LBB3_49
; %bb.24:                               ;   in Loop: Header=BB3_3 Depth=1
	s_or_saveexec_b64 s[4:5], s[4:5]
	v_mov_b32_e32 v16, 0x7f800001
	s_xor_b64 exec, exec, s[4:5]
	s_cbranch_execnz .LBB3_52
.LBB3_25:                               ;   in Loop: Header=BB3_3 Depth=1
	s_or_b64 exec, exec, s[4:5]
	s_and_saveexec_b64 s[4:5], s[2:3]
	s_cbranch_execz .LBB3_27
.LBB3_26:                               ;   in Loop: Header=BB3_3 Depth=1
	v_and_b32_e32 v17, 7, v1
	v_ffbh_u32_e32 v18, v17
	v_lshrrev_b16_e32 v16, 3, v1
	v_subrev_u32_e32 v19, 28, v18
	v_and_b32_e32 v16, 15, v16
	v_lshlrev_b32_e32 v19, v19, v1
	v_sub_u32_e32 v18, 29, v18
	v_and_b32_e32 v19, 7, v19
	v_cmp_eq_u32_e64 s[2:3], 0, v16
	s_nop 1
	v_cndmask_b32_e64 v17, v17, v19, s[2:3]
	v_cndmask_b32_e64 v16, v16, v18, s[2:3]
	v_lshlrev_b32_e32 v18, 24, v1
	v_lshlrev_b32_e32 v17, 20, v17
	v_and_b32_e32 v18, 0x80000000, v18
	v_lshl_add_u32 v16, v16, 23, v5
	v_or3_b32 v16, v18, v16, v17
.LBB3_27:                               ;   in Loop: Header=BB3_3 Depth=1
	s_or_b64 exec, exec, s[4:5]
	v_cmp_lt_i16_e64 s[2:3], s22, v11
	s_mov_b64 s[4:5], 0
	s_and_saveexec_b64 s[16:17], s[2:3]
	s_xor_b64 s[16:17], exec, s[16:17]
	s_cbranch_execnz .LBB3_53
; %bb.28:                               ;   in Loop: Header=BB3_3 Depth=1
	s_or_saveexec_b64 s[2:3], s[16:17]
	v_mov_b32_e32 v17, 0x7f800001
	s_xor_b64 exec, exec, s[2:3]
	s_cbranch_execnz .LBB3_56
.LBB3_29:                               ;   in Loop: Header=BB3_3 Depth=1
	s_or_b64 exec, exec, s[2:3]
	s_and_saveexec_b64 s[16:17], s[4:5]
	s_cbranch_execnz .LBB3_57
.LBB3_30:                               ;   in Loop: Header=BB3_3 Depth=1
	s_or_b64 exec, exec, s[16:17]
	v_cmp_ge_f32_e64 s[2:3], 0, v13
	s_and_saveexec_b64 s[4:5], s[2:3]
	s_cbranch_execz .LBB3_32
.LBB3_31:                               ;   in Loop: Header=BB3_3 Depth=1
	global_store_dword v9, v2, s[10:11] offset:16
.LBB3_32:                               ;   in Loop: Header=BB3_3 Depth=1
	s_or_b64 exec, exec, s[4:5]
	v_cmp_lt_i16_e64 s[4:5], s22, v11
	s_mov_b64 s[18:19], 0
	v_cmp_ne_u16_e64 s[2:3], s23, v11
	s_mov_b64 s[16:17], 0
	s_and_saveexec_b64 s[20:21], s[4:5]
	s_xor_b64 s[4:5], exec, s[20:21]
	s_cbranch_execnz .LBB3_58
; %bb.33:                               ;   in Loop: Header=BB3_3 Depth=1
	s_andn2_saveexec_b64 s[2:3], s[4:5]
	s_cbranch_execnz .LBB3_59
.LBB3_34:                               ;   in Loop: Header=BB3_3 Depth=1
	s_or_b64 exec, exec, s[2:3]
	s_mov_b64 s[20:21], 0
	s_and_saveexec_b64 s[4:5], s[18:19]
	s_cbranch_execnz .LBB3_60
.LBB3_35:                               ;   in Loop: Header=BB3_3 Depth=1
	s_or_b64 exec, exec, s[4:5]
	s_and_saveexec_b64 s[2:3], s[16:17]
	s_cbranch_execnz .LBB3_61
.LBB3_36:                               ;   in Loop: Header=BB3_3 Depth=1
	s_or_b64 exec, exec, s[2:3]
	s_and_saveexec_b64 s[2:3], s[20:21]
	s_cbranch_execz .LBB3_2
	s_branch .LBB3_62
.LBB3_37:                               ;   in Loop: Header=BB3_3 Depth=1
	v_cmp_eq_u16_e64 s[2:3], s23, v11
	s_mov_b64 s[4:5], -1
	s_and_saveexec_b64 s[18:19], s[2:3]
; %bb.38:                               ;   in Loop: Header=BB3_3 Depth=1
	s_xor_b64 s[4:5], exec, -1
; %bb.39:                               ;   in Loop: Header=BB3_3 Depth=1
	s_or_b64 exec, exec, s[18:19]
	s_and_b64 s[4:5], s[4:5], exec
	s_or_saveexec_b64 s[2:3], s[16:17]
	v_mov_b32_e32 v13, 0x7f800001
	s_xor_b64 exec, exec, s[2:3]
	s_cbranch_execz .LBB3_13
.LBB3_40:                               ;   in Loop: Header=BB3_3 Depth=1
	s_andn2_b64 s[4:5], s[4:5], exec
	s_and_b64 s[16:17], vcc, exec
	v_mov_b32_e32 v13, 0
	s_or_b64 s[4:5], s[4:5], s[16:17]
	s_or_b64 exec, exec, s[2:3]
	s_and_saveexec_b64 s[16:17], s[4:5]
	s_cbranch_execnz .LBB3_14
	s_branch .LBB3_15
.LBB3_41:                               ;   in Loop: Header=BB3_3 Depth=1
	v_cmp_eq_u16_sdwa s[18:19], v10, s23 src0_sel:BYTE_0 src1_sel:DWORD
	s_mov_b64 s[2:3], -1
	s_and_saveexec_b64 s[16:17], s[18:19]
; %bb.42:                               ;   in Loop: Header=BB3_3 Depth=1
	s_xor_b64 s[2:3], exec, -1
; %bb.43:                               ;   in Loop: Header=BB3_3 Depth=1
	s_or_b64 exec, exec, s[16:17]
	s_and_b64 s[2:3], s[2:3], exec
	s_or_saveexec_b64 s[4:5], s[4:5]
	v_mov_b32_e32 v14, 0x7f800001
	s_xor_b64 exec, exec, s[4:5]
	s_cbranch_execz .LBB3_17
.LBB3_44:                               ;   in Loop: Header=BB3_3 Depth=1
	v_cmp_ne_u16_sdwa s[16:17], v10, v9 src0_sel:BYTE_0 src1_sel:DWORD
	s_andn2_b64 s[2:3], s[2:3], exec
	s_and_b64 s[16:17], s[16:17], exec
	v_mov_b32_e32 v14, 0
	s_or_b64 s[2:3], s[2:3], s[16:17]
	s_or_b64 exec, exec, s[4:5]
	s_and_saveexec_b64 s[4:5], s[2:3]
	s_cbranch_execnz .LBB3_18
	s_branch .LBB3_19
.LBB3_45:                               ;   in Loop: Header=BB3_3 Depth=1
	v_cmp_eq_u16_e64 s[2:3], s23, v11
	s_mov_b64 s[4:5], -1
	s_and_saveexec_b64 s[18:19], s[2:3]
; %bb.46:                               ;   in Loop: Header=BB3_3 Depth=1
	s_xor_b64 s[4:5], exec, -1
; %bb.47:                               ;   in Loop: Header=BB3_3 Depth=1
	s_or_b64 exec, exec, s[18:19]
	s_and_b64 s[4:5], s[4:5], exec
	s_or_saveexec_b64 s[2:3], s[16:17]
	v_mov_b32_e32 v15, 0x7f800001
	s_xor_b64 exec, exec, s[2:3]
	s_cbranch_execz .LBB3_21
.LBB3_48:                               ;   in Loop: Header=BB3_3 Depth=1
	s_andn2_b64 s[4:5], s[4:5], exec
	s_and_b64 s[16:17], vcc, exec
	v_mov_b32_e32 v15, 0
	s_or_b64 s[4:5], s[4:5], s[16:17]
	s_or_b64 exec, exec, s[2:3]
	s_and_saveexec_b64 s[16:17], s[4:5]
	s_cbranch_execnz .LBB3_22
	s_branch .LBB3_23
.LBB3_49:                               ;   in Loop: Header=BB3_3 Depth=1
	v_cmp_eq_u16_sdwa s[18:19], v1, s23 src0_sel:BYTE_0 src1_sel:DWORD
	s_mov_b64 s[2:3], -1
	s_and_saveexec_b64 s[16:17], s[18:19]
; %bb.50:                               ;   in Loop: Header=BB3_3 Depth=1
	s_xor_b64 s[2:3], exec, -1
; %bb.51:                               ;   in Loop: Header=BB3_3 Depth=1
	s_or_b64 exec, exec, s[16:17]
	s_and_b64 s[2:3], s[2:3], exec
	s_or_saveexec_b64 s[4:5], s[4:5]
	v_mov_b32_e32 v16, 0x7f800001
	s_xor_b64 exec, exec, s[4:5]
	s_cbranch_execz .LBB3_25
.LBB3_52:                               ;   in Loop: Header=BB3_3 Depth=1
	v_cmp_ne_u16_sdwa s[16:17], v1, v9 src0_sel:BYTE_0 src1_sel:DWORD
	s_andn2_b64 s[2:3], s[2:3], exec
	s_and_b64 s[16:17], s[16:17], exec
	v_mov_b32_e32 v16, 0
	s_or_b64 s[2:3], s[2:3], s[16:17]
	s_or_b64 exec, exec, s[4:5]
	s_and_saveexec_b64 s[4:5], s[2:3]
	s_cbranch_execnz .LBB3_26
	s_branch .LBB3_27
.LBB3_53:                               ;   in Loop: Header=BB3_3 Depth=1
	v_cmp_eq_u16_e64 s[2:3], s23, v11
	s_mov_b64 s[4:5], -1
	s_and_saveexec_b64 s[18:19], s[2:3]
; %bb.54:                               ;   in Loop: Header=BB3_3 Depth=1
	s_xor_b64 s[4:5], exec, -1
; %bb.55:                               ;   in Loop: Header=BB3_3 Depth=1
	s_or_b64 exec, exec, s[18:19]
	s_and_b64 s[4:5], s[4:5], exec
	s_or_saveexec_b64 s[2:3], s[16:17]
	v_mov_b32_e32 v17, 0x7f800001
	s_xor_b64 exec, exec, s[2:3]
	s_cbranch_execz .LBB3_29
.LBB3_56:                               ;   in Loop: Header=BB3_3 Depth=1
	s_andn2_b64 s[4:5], s[4:5], exec
	s_and_b64 s[16:17], vcc, exec
	v_mov_b32_e32 v17, 0
	s_or_b64 s[4:5], s[4:5], s[16:17]
	s_or_b64 exec, exec, s[2:3]
	s_and_saveexec_b64 s[16:17], s[4:5]
	s_cbranch_execz .LBB3_30
.LBB3_57:                               ;   in Loop: Header=BB3_3 Depth=1
	v_and_b32_e32 v18, 0xffff, v11
	v_and_b32_e32 v19, 7, v18
	v_ffbh_u32_e32 v21, v19
	v_subrev_u32_e32 v22, 28, v21
	v_bfe_u32 v20, v18, 3, 4
	v_lshlrev_b32_e32 v18, v22, v18
	v_sub_u32_e32 v21, 29, v21
	v_and_b32_e32 v18, 7, v18
	v_cmp_eq_u32_e64 s[2:3], 0, v20
	v_lshlrev_b32_e32 v17, 24, v11
	v_and_b32_e32 v17, 0x80000000, v17
	v_cndmask_b32_e64 v18, v19, v18, s[2:3]
	v_cndmask_b32_e64 v19, v20, v21, s[2:3]
	v_lshlrev_b32_e32 v18, 20, v18
	v_lshl_add_u32 v19, v19, 23, v5
	v_or3_b32 v17, v17, v19, v18
	s_or_b64 exec, exec, s[16:17]
	v_cmp_ge_f32_e64 s[2:3], 0, v13
	s_and_saveexec_b64 s[4:5], s[2:3]
	s_cbranch_execnz .LBB3_31
	s_branch .LBB3_32
.LBB3_58:                               ;   in Loop: Header=BB3_3 Depth=1
	s_mov_b64 s[16:17], exec
	s_and_b64 s[18:19], s[2:3], exec
	s_andn2_saveexec_b64 s[2:3], s[4:5]
	s_cbranch_execz .LBB3_34
.LBB3_59:                               ;   in Loop: Header=BB3_3 Depth=1
	s_andn2_b64 s[4:5], s[18:19], exec
	s_and_b64 s[18:19], vcc, exec
	s_or_b64 s[18:19], s[4:5], s[18:19]
	s_or_b64 exec, exec, s[2:3]
	s_mov_b64 s[20:21], 0
	s_and_saveexec_b64 s[4:5], s[18:19]
	s_cbranch_execz .LBB3_35
.LBB3_60:                               ;   in Loop: Header=BB3_3 Depth=1
	v_and_b32_e32 v19, 0xffff, v11
	v_and_b32_e32 v20, 7, v19
	v_ffbh_u32_e32 v22, v20
	v_subrev_u32_e32 v23, 28, v22
	v_bfe_u32 v21, v19, 3, 4
	v_lshlrev_b32_e32 v19, v23, v19
	v_sub_u32_e32 v22, 29, v22
	v_and_b32_e32 v19, 7, v19
	v_cmp_eq_u32_e32 vcc, 0, v21
	v_lshlrev_b32_e32 v18, 24, v11
	v_and_b32_e32 v18, 0x80000000, v18
	v_cndmask_b32_e32 v19, v20, v19, vcc
	v_cndmask_b32_e32 v20, v21, v22, vcc
	v_lshlrev_b32_e32 v19, 20, v19
	v_lshl_add_u32 v20, v20, 23, v5
	v_or3_b32 v18, v18, v20, v19
	v_cmp_u_f32_e32 vcc, v18, v18
	v_cmp_o_f32_e64 s[2:3], v18, v18
	s_and_b64 s[20:21], s[2:3], exec
	s_andn2_b64 s[2:3], s[16:17], exec
	s_and_b64 s[16:17], vcc, exec
	s_or_b64 s[16:17], s[2:3], s[16:17]
	s_or_b64 exec, exec, s[4:5]
	s_and_saveexec_b64 s[2:3], s[16:17]
	s_cbranch_execz .LBB3_36
.LBB3_61:                               ;   in Loop: Header=BB3_3 Depth=1
	s_or_b64 s[20:21], s[20:21], exec
	global_store_dword v9, v2, s[10:11] offset:20
	s_or_b64 exec, exec, s[2:3]
	s_and_saveexec_b64 s[2:3], s[20:21]
	s_cbranch_execz .LBB3_2
.LBB3_62:                               ;   in Loop: Header=BB3_3 Depth=1
	v_cmp_ne_u16_e32 vcc, s23, v11
	s_and_b64 exec, exec, vcc
	s_cbranch_execz .LBB3_2
; %bb.63:                               ;   in Loop: Header=BB3_3 Depth=1
	v_and_b32_e32 v19, 0xffff, v11
	v_and_b32_e32 v20, 7, v19
	v_ffbh_u32_e32 v22, v20
	v_subrev_u32_e32 v23, 28, v22
	v_bfe_u32 v21, v19, 3, 4
	v_lshlrev_b32_e32 v19, v23, v19
	v_sub_u32_e32 v22, 29, v22
	v_and_b32_e32 v19, 7, v19
	v_cmp_eq_u32_e32 vcc, 0, v21
	v_lshlrev_b32_e32 v18, 24, v11
	v_and_b32_e32 v18, 0x80000000, v18
	v_cndmask_b32_e32 v19, v20, v19, vcc
	v_cndmask_b32_e32 v20, v21, v22, vcc
	v_lshlrev_b32_e32 v19, 20, v19
	v_lshl_add_u32 v20, v20, 23, v5
	v_or3_b32 v18, v18, v20, v19
	v_cmp_class_f32_e64 s[4:5], v18, s24
	s_and_b64 exec, exec, s[4:5]
	s_cbranch_execz .LBB3_2
; %bb.64:                               ;   in Loop: Header=BB3_3 Depth=1
	global_store_dword v9, v2, s[10:11] offset:24
	s_branch .LBB3_2
.LBB3_65:
	s_or_b64 exec, exec, s[14:15]
.LBB3_66:
	s_or_b64 exec, exec, s[6:7]
	s_load_dword s0, s[0:1], 0x18
	s_waitcnt lgkmcnt(0)
	s_bitcmp1_b32 s0, 0
	s_cselect_b64 s[0:1], -1, 0
	s_and_b64 vcc, exec, s[0:1]
	s_cbranch_vccz .LBB3_102
; %bb.67:
	s_movk_i32 s0, 0x7f
	v_lshlrev_b32_e32 v2, 4, v0
	v_mov_b32_e32 v5, v3
	v_cmp_gt_i16_sdwa s[2:3], v10, s0 src0_sel:BYTE_0 src1_sel:DWORD
	s_mov_b64 s[0:1], 0
	ds_write_b64 v2, v[4:5]
	s_and_saveexec_b64 s[4:5], s[2:3]
	s_xor_b64 s[2:3], exec, s[4:5]
	s_cbranch_execnz .LBB3_103
; %bb.68:
	s_or_saveexec_b64 s[2:3], s[2:3]
	v_mov_b32_e32 v3, 0x7f800001
	s_xor_b64 exec, exec, s[2:3]
	s_cbranch_execnz .LBB3_106
.LBB3_69:
	s_or_b64 exec, exec, s[2:3]
	s_and_saveexec_b64 s[2:3], s[0:1]
	s_cbranch_execz .LBB3_71
.LBB3_70:
	v_and_b32_e32 v4, 7, v10
	v_ffbh_u32_e32 v5, v4
	v_lshrrev_b16_e32 v3, 3, v10
	v_subrev_u32_e32 v6, 28, v5
	v_and_b32_e32 v3, 15, v3
	v_lshlrev_b32_e32 v6, v6, v10
	v_sub_u32_e32 v5, 29, v5
	v_and_b32_e32 v6, 7, v6
	v_cmp_eq_u32_e32 vcc, 0, v3
	s_nop 1
	v_cndmask_b32_e32 v4, v4, v6, vcc
	v_cndmask_b32_e32 v3, v3, v5, vcc
	v_lshlrev_b32_e32 v5, 24, v10
	v_mov_b32_e32 v6, 0x3b800000
	v_lshlrev_b32_e32 v4, 20, v4
	v_and_b32_e32 v5, 0x80000000, v5
	v_lshl_add_u32 v3, v3, 23, v6
	v_or3_b32 v3, v5, v3, v4
.LBB3_71:
	s_or_b64 exec, exec, s[2:3]
	s_movk_i32 s0, 0x7f
	v_cmp_gt_i16_sdwa s[2:3], v1, s0 src0_sel:BYTE_0 src1_sel:DWORD
	s_mov_b64 s[0:1], 0
	ds_write_b32 v2, v3 offset:8
	s_and_saveexec_b64 s[4:5], s[2:3]
	s_xor_b64 s[2:3], exec, s[4:5]
	s_cbranch_execnz .LBB3_107
; %bb.72:
	s_or_saveexec_b64 s[2:3], s[2:3]
	v_mov_b32_e32 v3, 0x7f800001
	s_xor_b64 exec, exec, s[2:3]
	s_cbranch_execnz .LBB3_110
.LBB3_73:
	s_or_b64 exec, exec, s[2:3]
	s_and_saveexec_b64 s[2:3], s[0:1]
	s_cbranch_execz .LBB3_75
.LBB3_74:
	v_and_b32_e32 v4, 7, v1
	v_ffbh_u32_e32 v5, v4
	v_lshrrev_b16_e32 v3, 3, v1
	v_subrev_u32_e32 v6, 28, v5
	v_and_b32_e32 v3, 15, v3
	v_lshlrev_b32_e32 v6, v6, v1
	v_sub_u32_e32 v5, 29, v5
	v_and_b32_e32 v6, 7, v6
	v_cmp_eq_u32_e32 vcc, 0, v3
	v_lshlrev_b32_e32 v1, 24, v1
	v_and_b32_e32 v1, 0x80000000, v1
	v_cndmask_b32_e32 v4, v4, v6, vcc
	v_cndmask_b32_e32 v3, v3, v5, vcc
	v_mov_b32_e32 v5, 0x3b800000
	v_lshlrev_b32_e32 v4, 20, v4
	v_lshl_add_u32 v3, v3, 23, v5
	v_or3_b32 v3, v1, v3, v4
.LBB3_75:
	s_or_b64 exec, exec, s[2:3]
	s_movk_i32 s0, 0x80
	v_cmp_gt_u32_e32 vcc, s0, v0
	ds_write_b32 v2, v3 offset:12
	s_waitcnt lgkmcnt(0)
	s_barrier
	s_and_saveexec_b64 s[0:1], vcc
	s_cbranch_execz .LBB3_77
; %bb.76:
	ds_read_b128 v[4:7], v2 offset:2048
	ds_read_b128 v[8:11], v2
	s_waitcnt lgkmcnt(1)
	v_max_f32_e32 v1, v6, v6
	s_waitcnt lgkmcnt(0)
	v_max_f32_e32 v3, v10, v10
	v_max_f32_e32 v7, v7, v7
	v_min_f32_e32 v6, v3, v1
	v_max_f32_e32 v1, v11, v11
	v_pk_add_f32 v[4:5], v[4:5], v[8:9]
	v_max_f32_e32 v7, v1, v7
	ds_write_b128 v2, v[4:7]
.LBB3_77:
	s_or_b64 exec, exec, s[0:1]
	v_cmp_gt_u32_e32 vcc, 64, v0
	s_waitcnt lgkmcnt(0)
	s_barrier
	s_and_saveexec_b64 s[0:1], vcc
	s_cbranch_execz .LBB3_79
; %bb.78:
	ds_read_b128 v[4:7], v2 offset:1024
	ds_read_b128 v[8:11], v2
	s_waitcnt lgkmcnt(1)
	v_max_f32_e32 v1, v6, v6
	s_waitcnt lgkmcnt(0)
	v_max_f32_e32 v3, v10, v10
	v_max_f32_e32 v7, v7, v7
	v_min_f32_e32 v6, v3, v1
	v_max_f32_e32 v1, v11, v11
	v_pk_add_f32 v[4:5], v[4:5], v[8:9]
	v_max_f32_e32 v7, v1, v7
	ds_write_b128 v2, v[4:7]
.LBB3_79:
	s_or_b64 exec, exec, s[0:1]
	v_cmp_gt_u32_e32 vcc, 32, v0
	s_waitcnt lgkmcnt(0)
	s_barrier
	s_and_saveexec_b64 s[0:1], vcc
	s_cbranch_execz .LBB3_81
; %bb.80:
	ds_read_b128 v[4:7], v2 offset:512
	ds_read_b128 v[8:11], v2
	s_waitcnt lgkmcnt(1)
	v_max_f32_e32 v1, v6, v6
	s_waitcnt lgkmcnt(0)
	v_max_f32_e32 v3, v10, v10
	v_max_f32_e32 v7, v7, v7
	v_min_f32_e32 v6, v3, v1
	v_max_f32_e32 v1, v11, v11
	v_pk_add_f32 v[4:5], v[4:5], v[8:9]
	v_max_f32_e32 v7, v1, v7
	ds_write_b128 v2, v[4:7]
.LBB3_81:
	s_or_b64 exec, exec, s[0:1]
	v_cmp_gt_u32_e32 vcc, 16, v0
	s_waitcnt lgkmcnt(0)
	s_barrier
	s_and_saveexec_b64 s[0:1], vcc
	s_cbranch_execz .LBB3_83
; %bb.82:
	ds_read_b128 v[4:7], v2 offset:256
	ds_read_b128 v[8:11], v2
	s_waitcnt lgkmcnt(1)
	v_max_f32_e32 v1, v6, v6
	s_waitcnt lgkmcnt(0)
	v_max_f32_e32 v3, v10, v10
	v_max_f32_e32 v7, v7, v7
	v_min_f32_e32 v6, v3, v1
	v_max_f32_e32 v1, v11, v11
	v_pk_add_f32 v[4:5], v[4:5], v[8:9]
	v_max_f32_e32 v7, v1, v7
	ds_write_b128 v2, v[4:7]
.LBB3_83:
	s_or_b64 exec, exec, s[0:1]
	v_cmp_gt_u32_e32 vcc, 8, v0
	s_waitcnt lgkmcnt(0)
	s_barrier
	s_and_saveexec_b64 s[0:1], vcc
	s_cbranch_execz .LBB3_85
; %bb.84:
	ds_read_b128 v[4:7], v2 offset:128
	ds_read_b128 v[8:11], v2
	s_waitcnt lgkmcnt(1)
	v_max_f32_e32 v1, v6, v6
	s_waitcnt lgkmcnt(0)
	v_max_f32_e32 v3, v10, v10
	v_max_f32_e32 v7, v7, v7
	v_min_f32_e32 v6, v3, v1
	v_max_f32_e32 v1, v11, v11
	v_pk_add_f32 v[4:5], v[4:5], v[8:9]
	v_max_f32_e32 v7, v1, v7
	ds_write_b128 v2, v[4:7]
.LBB3_85:
	s_or_b64 exec, exec, s[0:1]
	v_cmp_gt_u32_e32 vcc, 4, v0
	s_waitcnt lgkmcnt(0)
	s_barrier
	s_and_saveexec_b64 s[0:1], vcc
	s_cbranch_execz .LBB3_87
; %bb.86:
	ds_read_b128 v[4:7], v2 offset:64
	ds_read_b128 v[8:11], v2
	s_waitcnt lgkmcnt(1)
	v_max_f32_e32 v1, v6, v6
	s_waitcnt lgkmcnt(0)
	v_max_f32_e32 v3, v10, v10
	v_max_f32_e32 v7, v7, v7
	v_min_f32_e32 v6, v3, v1
	v_max_f32_e32 v1, v11, v11
	v_pk_add_f32 v[4:5], v[4:5], v[8:9]
	v_max_f32_e32 v7, v1, v7
	ds_write_b128 v2, v[4:7]
.LBB3_87:
	s_or_b64 exec, exec, s[0:1]
	v_cmp_gt_u32_e32 vcc, 2, v0
	s_waitcnt lgkmcnt(0)
	s_barrier
	s_and_saveexec_b64 s[0:1], vcc
	s_cbranch_execz .LBB3_89
; %bb.88:
	ds_read_b128 v[4:7], v2
	ds_read_b128 v[8:11], v2 offset:32
	s_waitcnt lgkmcnt(1)
	v_max_f32_e32 v3, v6, v6
	s_waitcnt lgkmcnt(0)
	v_max_f32_e32 v1, v10, v10
	v_pk_add_f32 v[4:5], v[8:9], v[4:5]
	v_max_f32_e32 v8, v11, v11
	v_min_f32_e32 v6, v3, v1
	v_max_f32_e32 v1, v7, v7
	v_max_f32_e32 v7, v1, v8
	ds_write_b128 v2, v[4:7]
.LBB3_89:
	s_or_b64 exec, exec, s[0:1]
	v_cmp_eq_u32_e32 vcc, 0, v0
	s_waitcnt lgkmcnt(0)
	s_barrier
	s_and_saveexec_b64 s[0:1], vcc
	s_cbranch_execz .LBB3_91
; %bb.90:
	ds_read_b128 v[4:7], v2
	ds_read_b128 v[8:11], v2 offset:16
	s_waitcnt lgkmcnt(1)
	v_max_f32_e32 v1, v6, v6
	s_waitcnt lgkmcnt(0)
	v_max_f32_e32 v0, v10, v10
	v_max_f32_e32 v3, v11, v11
	v_min_f32_e32 v6, v1, v0
	v_max_f32_e32 v0, v7, v7
	v_pk_add_f32 v[4:5], v[8:9], v[4:5]
	v_max_f32_e32 v7, v0, v3
	ds_write_b128 v2, v[4:7]
.LBB3_91:
	s_or_b64 exec, exec, s[0:1]
	s_waitcnt lgkmcnt(0)
	s_barrier
	s_and_saveexec_b64 s[0:1], vcc
	s_cbranch_execz .LBB3_102
; %bb.92:
	s_mov_b64 s[2:3], exec
	v_mbcnt_lo_u32_b32 v0, s2, 0
	v_mbcnt_hi_u32_b32 v0, s3, v0
	v_cmp_eq_u32_e32 vcc, 0, v0
	s_and_saveexec_b64 s[0:1], vcc
	s_cbranch_execz .LBB3_94
; %bb.93:
	v_mov_b32_e32 v0, 0
	ds_read_b32 v1, v0
	s_bcnt1_i32_b64 s2, s[2:3]
	v_cvt_f32_ubyte0_e32 v2, s2
	s_waitcnt lgkmcnt(0)
	v_mul_f32_e32 v1, v1, v2
	global_atomic_add_f32 v0, v1, s[10:11]
.LBB3_94:
	s_or_b64 exec, exec, s[0:1]
	s_mov_b64 s[2:3], exec
	v_mbcnt_lo_u32_b32 v0, s2, 0
	v_mbcnt_hi_u32_b32 v0, s3, v0
	v_cmp_eq_u32_e32 vcc, 0, v0
	s_and_saveexec_b64 s[0:1], vcc
	s_cbranch_execz .LBB3_96
; %bb.95:
	v_mov_b32_e32 v0, 0
	ds_read_b32 v1, v0 offset:4
	s_bcnt1_i32_b64 s2, s[2:3]
	v_cvt_f32_ubyte0_e32 v2, s2
	s_waitcnt lgkmcnt(0)
	v_mul_f32_e32 v1, v1, v2
	global_atomic_add_f32 v0, v1, s[10:11] offset:4
.LBB3_96:
	s_or_b64 exec, exec, s[0:1]
	v_mbcnt_lo_u32_b32 v0, exec_lo, 0
	v_mbcnt_hi_u32_b32 v0, exec_hi, v0
	v_cmp_eq_u32_e32 vcc, 0, v0
	s_and_saveexec_b64 s[0:1], vcc
	s_cbranch_execz .LBB3_99
; %bb.97:
	v_mov_b32_e32 v2, 0
	s_load_dword s4, s[10:11], 0x8
	ds_read_b32 v0, v2 offset:8
	s_mov_b64 s[2:3], 0
	s_waitcnt lgkmcnt(0)
	v_mov_b32_e32 v1, s4
	v_max_f32_e32 v3, v0, v0
.LBB3_98:                               ; =>This Inner Loop Header: Depth=1
	v_max_f32_e32 v0, v1, v1
	v_min_f32_e32 v0, v0, v3
	global_atomic_cmpswap v0, v2, v[0:1], s[10:11] offset:8 sc0
	s_waitcnt vmcnt(0)
	v_cmp_eq_u32_e32 vcc, v0, v1
	s_or_b64 s[2:3], vcc, s[2:3]
	v_mov_b32_e32 v1, v0
	s_andn2_b64 exec, exec, s[2:3]
	s_cbranch_execnz .LBB3_98
.LBB3_99:
	s_or_b64 exec, exec, s[0:1]
	v_mbcnt_lo_u32_b32 v0, exec_lo, 0
	v_mbcnt_hi_u32_b32 v0, exec_hi, v0
	v_cmp_eq_u32_e32 vcc, 0, v0
	s_and_b64 exec, exec, vcc
	s_cbranch_execz .LBB3_102
; %bb.100:
	v_mov_b32_e32 v2, 0
	s_load_dword s2, s[10:11], 0xc
	ds_read_b32 v0, v2 offset:12
	s_mov_b64 s[0:1], 0
	s_waitcnt lgkmcnt(0)
	v_mov_b32_e32 v1, s2
	v_max_f32_e32 v3, v0, v0
.LBB3_101:                              ; =>This Inner Loop Header: Depth=1
	v_max_f32_e32 v0, v1, v1
	v_max_f32_e32 v0, v0, v3
	global_atomic_cmpswap v0, v2, v[0:1], s[10:11] offset:12 sc0
	s_waitcnt vmcnt(0)
	v_cmp_eq_u32_e32 vcc, v0, v1
	s_or_b64 s[0:1], vcc, s[0:1]
	v_mov_b32_e32 v1, v0
	s_andn2_b64 exec, exec, s[0:1]
	s_cbranch_execnz .LBB3_101
.LBB3_102:
	s_endpgm
.LBB3_103:
	s_movk_i32 s0, 0x80
	v_cmp_eq_u16_sdwa s[6:7], v10, s0 src0_sel:BYTE_0 src1_sel:DWORD
	s_mov_b64 s[0:1], -1
	s_and_saveexec_b64 s[4:5], s[6:7]
; %bb.104:
	s_xor_b64 s[0:1], exec, -1
; %bb.105:
	s_or_b64 exec, exec, s[4:5]
	s_and_b64 s[0:1], s[0:1], exec
	s_or_saveexec_b64 s[2:3], s[2:3]
	v_mov_b32_e32 v3, 0x7f800001
	s_xor_b64 exec, exec, s[2:3]
	s_cbranch_execz .LBB3_69
.LBB3_106:
	s_mov_b32 s4, 0xffff
	v_mov_b32_e32 v4, 0
	v_and_b32_sdwa v3, s4, v10 dst_sel:DWORD dst_unused:UNUSED_PAD src0_sel:DWORD src1_sel:BYTE_0
	v_cmp_ne_u16_sdwa s[4:5], v10, v4 src0_sel:BYTE_0 src1_sel:DWORD
	s_andn2_b64 s[0:1], s[0:1], exec
	s_and_b64 s[4:5], s[4:5], exec
	s_or_b64 s[0:1], s[0:1], s[4:5]
	s_or_b64 exec, exec, s[2:3]
	s_and_saveexec_b64 s[2:3], s[0:1]
	s_cbranch_execnz .LBB3_70
	s_branch .LBB3_71
.LBB3_107:
	s_movk_i32 s0, 0x80
	v_cmp_eq_u16_sdwa s[6:7], v1, s0 src0_sel:BYTE_0 src1_sel:DWORD
	s_mov_b64 s[0:1], -1
	s_and_saveexec_b64 s[4:5], s[6:7]
; %bb.108:
	s_xor_b64 s[0:1], exec, -1
; %bb.109:
	s_or_b64 exec, exec, s[4:5]
	s_and_b64 s[0:1], s[0:1], exec
	s_or_saveexec_b64 s[2:3], s[2:3]
	v_mov_b32_e32 v3, 0x7f800001
	s_xor_b64 exec, exec, s[2:3]
	s_cbranch_execz .LBB3_73
.LBB3_110:
	s_mov_b32 s4, 0xffff
	v_mov_b32_e32 v4, 0
	v_and_b32_sdwa v3, s4, v1 dst_sel:DWORD dst_unused:UNUSED_PAD src0_sel:DWORD src1_sel:BYTE_0
	v_cmp_ne_u16_sdwa s[4:5], v1, v4 src0_sel:BYTE_0 src1_sel:DWORD
	s_andn2_b64 s[0:1], s[0:1], exec
	s_and_b64 s[4:5], s[4:5], exec
	s_or_b64 s[0:1], s[0:1], s[4:5]
	s_or_b64 exec, exec, s[2:3]
	s_and_saveexec_b64 s[2:3], s[0:1]
	s_cbranch_execnz .LBB3_74
	s_branch .LBB3_75
	.section	.rodata,"a",@progbits
	.p2align	6, 0x0
	.amdhsa_kernel check_numerics_fp8
		.amdhsa_group_segment_fixed_size 4096
		.amdhsa_private_segment_fixed_size 0
		.amdhsa_kernarg_size 288
		.amdhsa_user_sgpr_count 2
		.amdhsa_user_sgpr_dispatch_ptr 0
		.amdhsa_user_sgpr_queue_ptr 0
		.amdhsa_user_sgpr_kernarg_segment_ptr 1
		.amdhsa_user_sgpr_dispatch_id 0
		.amdhsa_user_sgpr_kernarg_preload_length 0
		.amdhsa_user_sgpr_kernarg_preload_offset 0
		.amdhsa_user_sgpr_private_segment_size 0
		.amdhsa_uses_dynamic_stack 0
		.amdhsa_enable_private_segment 0
		.amdhsa_system_sgpr_workgroup_id_x 1
		.amdhsa_system_sgpr_workgroup_id_y 0
		.amdhsa_system_sgpr_workgroup_id_z 0
		.amdhsa_system_sgpr_workgroup_info 0
		.amdhsa_system_vgpr_workitem_id 0
		.amdhsa_next_free_vgpr 24
		.amdhsa_next_free_sgpr 25
		.amdhsa_accum_offset 24
		.amdhsa_reserve_vcc 1
		.amdhsa_float_round_mode_32 0
		.amdhsa_float_round_mode_16_64 0
		.amdhsa_float_denorm_mode_32 3
		.amdhsa_float_denorm_mode_16_64 3
		.amdhsa_dx10_clamp 1
		.amdhsa_ieee_mode 1
		.amdhsa_fp16_overflow 0
		.amdhsa_tg_split 0
		.amdhsa_exception_fp_ieee_invalid_op 0
		.amdhsa_exception_fp_denorm_src 0
		.amdhsa_exception_fp_ieee_div_zero 0
		.amdhsa_exception_fp_ieee_overflow 0
		.amdhsa_exception_fp_ieee_underflow 0
		.amdhsa_exception_fp_ieee_inexact 0
		.amdhsa_exception_int_div_zero 0
	.end_amdhsa_kernel
	.text
.Lfunc_end3:
	.size	check_numerics_fp8, .Lfunc_end3-check_numerics_fp8
                                        ; -- End function
	.set check_numerics_fp8.num_vgpr, 24
	.set check_numerics_fp8.num_agpr, 0
	.set check_numerics_fp8.numbered_sgpr, 25
	.set check_numerics_fp8.num_named_barrier, 0
	.set check_numerics_fp8.private_seg_size, 0
	.set check_numerics_fp8.uses_vcc, 1
	.set check_numerics_fp8.uses_flat_scratch, 0
	.set check_numerics_fp8.has_dyn_sized_stack, 0
	.set check_numerics_fp8.has_recursion, 0
	.set check_numerics_fp8.has_indirect_call, 0
	.section	.AMDGPU.csdata,"",@progbits
; Kernel info:
; codeLenInByte = 3764
; TotalNumSgprs: 31
; NumVgprs: 24
; NumAgprs: 0
; TotalNumVgprs: 24
; ScratchSize: 0
; MemoryBound: 0
; FloatMode: 240
; IeeeMode: 1
; LDSByteSize: 4096 bytes/workgroup (compile time only)
; SGPRBlocks: 3
; VGPRBlocks: 2
; NumSGPRsForWavesPerEU: 31
; NumVGPRsForWavesPerEU: 24
; AccumOffset: 24
; Occupancy: 8
; WaveLimiterHint : 0
; COMPUTE_PGM_RSRC2:SCRATCH_EN: 0
; COMPUTE_PGM_RSRC2:USER_SGPR: 2
; COMPUTE_PGM_RSRC2:TRAP_HANDLER: 0
; COMPUTE_PGM_RSRC2:TGID_X_EN: 1
; COMPUTE_PGM_RSRC2:TGID_Y_EN: 0
; COMPUTE_PGM_RSRC2:TGID_Z_EN: 0
; COMPUTE_PGM_RSRC2:TIDIG_COMP_CNT: 0
; COMPUTE_PGM_RSRC3_GFX90A:ACCUM_OFFSET: 5
; COMPUTE_PGM_RSRC3_GFX90A:TG_SPLIT: 0
	.text
	.protected	check_numerics_bf8      ; -- Begin function check_numerics_bf8
	.globl	check_numerics_bf8
	.p2align	8
	.type	check_numerics_bf8,@function
check_numerics_bf8:                     ; @check_numerics_bf8
; %bb.0:
	s_load_dword s3, s[0:1], 0x20
	s_load_dwordx4 s[8:11], s[0:1], 0x8
	s_add_u32 s4, s0, 32
	s_addc_u32 s5, s1, 0
	v_mov_b32_e32 v3, 0
	s_waitcnt lgkmcnt(0)
	s_cmp_lt_u32 s2, s3
	s_cselect_b32 s6, 12, 18
	s_add_u32 s4, s4, s6
	s_addc_u32 s5, s5, 0
	global_load_ushort v5, v3, s[4:5]
	v_mov_b32_e32 v1, 4
	v_mov_b32_e32 v10, 0x7f
	;; [unrolled: 1-line block ×3, first 2 shown]
	s_waitcnt vmcnt(0)
	v_mul_lo_u32 v2, s2, v5
	v_add_u32_e32 v2, v2, v0
	v_cmp_gt_u64_e32 vcc, s[8:9], v[2:3]
	s_and_saveexec_b64 s[6:7], vcc
	s_cbranch_execz .LBB4_66
; %bb.1:
	s_load_dwordx2 s[12:13], s[0:1], 0x0
	v_mov_b32_e32 v9, 0
	v_mov_b64_e32 v[6:7], v[2:3]
	v_mul_lo_u32 v8, s3, v5
	v_mov_b32_e32 v1, 4
	v_mov_b32_e32 v10, 0x7f
	s_mov_b64 s[14:15], 0
	s_movk_i32 s22, 0x7f
	s_movk_i32 s23, 0x80
	v_mov_b32_e32 v2, 1
	s_movk_i32 s24, 0x204
	v_mov_b32_e32 v5, 0x37800000
	v_mov_b32_e32 v4, v9
	;; [unrolled: 1-line block ×3, first 2 shown]
	s_branch .LBB4_3
.LBB4_2:                                ;   in Loop: Header=BB4_3 Depth=1
	s_or_b64 exec, exec, s[2:3]
	v_cmp_gt_f32_e32 vcc, v16, v17
	v_lshl_add_u64 v[6:7], v[6:7], 0, v[8:9]
	v_add_f32_e32 v3, v3, v13
	v_cndmask_b32_e32 v1, v11, v1, vcc
	v_cmp_lt_f32_e32 vcc, v14, v15
	v_add_f32_e32 v4, v4, v12
	s_nop 0
	v_cndmask_b32_e32 v10, v11, v10, vcc
	v_cmp_le_u64_e32 vcc, s[8:9], v[6:7]
	s_or_b64 s[14:15], vcc, s[14:15]
	s_andn2_b64 exec, exec, s[14:15]
	s_cbranch_execz .LBB4_65
.LBB4_3:                                ; =>This Inner Loop Header: Depth=1
	s_waitcnt lgkmcnt(0)
	v_lshl_add_u64 v[12:13], s[12:13], 0, v[6:7]
	global_load_ubyte v11, v[12:13], off
	s_mov_b64 s[2:3], 0
	s_waitcnt vmcnt(0)
	v_cmp_lt_i16_e32 vcc, s22, v11
	s_and_saveexec_b64 s[4:5], vcc
	s_xor_b64 s[4:5], exec, s[4:5]
	s_cbranch_execz .LBB4_7
; %bb.4:                                ;   in Loop: Header=BB4_3 Depth=1
	v_cmp_eq_u16_e32 vcc, s23, v11
	s_mov_b64 s[2:3], -1
	s_and_saveexec_b64 s[16:17], vcc
; %bb.5:                                ;   in Loop: Header=BB4_3 Depth=1
	s_xor_b64 s[2:3], exec, -1
; %bb.6:                                ;   in Loop: Header=BB4_3 Depth=1
	s_or_b64 exec, exec, s[16:17]
	s_and_b64 s[2:3], s[2:3], exec
.LBB4_7:                                ;   in Loop: Header=BB4_3 Depth=1
	s_or_saveexec_b64 s[4:5], s[4:5]
	v_mov_b32_e32 v12, 0x7f800001
	v_cmp_ne_u16_e32 vcc, 0, v11
	s_xor_b64 exec, exec, s[4:5]
; %bb.8:                                ;   in Loop: Header=BB4_3 Depth=1
	s_andn2_b64 s[2:3], s[2:3], exec
	s_and_b64 s[16:17], vcc, exec
	v_mov_b32_e32 v12, 0
	s_or_b64 s[2:3], s[2:3], s[16:17]
; %bb.9:                                ;   in Loop: Header=BB4_3 Depth=1
	s_or_b64 exec, exec, s[4:5]
	s_and_saveexec_b64 s[4:5], s[2:3]
	s_cbranch_execz .LBB4_11
; %bb.10:                               ;   in Loop: Header=BB4_3 Depth=1
	v_and_b32_e32 v13, 0xffff, v11
	v_and_b32_e32 v14, 3, v13
	v_ffbh_u32_e32 v16, v14
	v_subrev_u32_e32 v17, 29, v16
	v_bfe_u32 v15, v13, 2, 5
	v_lshlrev_b32_e32 v13, v17, v13
	v_sub_u32_e32 v16, 30, v16
	v_and_b32_e32 v13, 3, v13
	v_cmp_eq_u32_e64 s[2:3], 0, v15
	v_lshlrev_b32_e32 v12, 24, v11
	v_and_b32_e32 v12, 0x80000000, v12
	v_cndmask_b32_e64 v13, v14, v13, s[2:3]
	v_cndmask_b32_e64 v14, v15, v16, s[2:3]
	v_lshlrev_b32_e32 v13, 21, v13
	v_lshl_add_u32 v14, v14, 23, v5
	v_or3_b32 v12, v12, v14, v13
.LBB4_11:                               ;   in Loop: Header=BB4_3 Depth=1
	s_or_b64 exec, exec, s[4:5]
	v_cmp_lt_i16_e64 s[2:3], s22, v11
	s_mov_b64 s[4:5], 0
	s_and_saveexec_b64 s[16:17], s[2:3]
	s_xor_b64 s[16:17], exec, s[16:17]
	s_cbranch_execnz .LBB4_37
; %bb.12:                               ;   in Loop: Header=BB4_3 Depth=1
	s_or_saveexec_b64 s[2:3], s[16:17]
	v_mov_b32_e32 v13, 0x7f800001
	s_xor_b64 exec, exec, s[2:3]
	s_cbranch_execnz .LBB4_40
.LBB4_13:                               ;   in Loop: Header=BB4_3 Depth=1
	s_or_b64 exec, exec, s[2:3]
	s_and_saveexec_b64 s[16:17], s[4:5]
	s_cbranch_execz .LBB4_15
.LBB4_14:                               ;   in Loop: Header=BB4_3 Depth=1
	v_and_b32_e32 v14, 0xffff, v11
	v_and_b32_e32 v15, 3, v14
	v_ffbh_u32_e32 v17, v15
	v_subrev_u32_e32 v18, 29, v17
	v_bfe_u32 v16, v14, 2, 5
	v_lshlrev_b32_e32 v14, v18, v14
	v_sub_u32_e32 v17, 30, v17
	v_and_b32_e32 v14, 3, v14
	v_cmp_eq_u32_e64 s[2:3], 0, v16
	v_lshlrev_b32_e32 v13, 24, v11
	v_and_b32_e32 v13, 0x80000000, v13
	v_cndmask_b32_e64 v14, v15, v14, s[2:3]
	v_cndmask_b32_e64 v15, v16, v17, s[2:3]
	v_lshlrev_b32_e32 v14, 21, v14
	v_lshl_add_u32 v15, v15, 23, v5
	v_or3_b32 v13, v13, v15, v14
	v_and_b32_e32 v13, 0x7fffffff, v13
.LBB4_15:                               ;   in Loop: Header=BB4_3 Depth=1
	s_or_b64 exec, exec, s[16:17]
	v_cmp_gt_i16_sdwa s[4:5], v10, s22 src0_sel:BYTE_0 src1_sel:DWORD
	s_mov_b64 s[2:3], 0
	s_and_saveexec_b64 s[16:17], s[4:5]
	s_xor_b64 s[4:5], exec, s[16:17]
	s_cbranch_execnz .LBB4_41
; %bb.16:                               ;   in Loop: Header=BB4_3 Depth=1
	s_or_saveexec_b64 s[4:5], s[4:5]
	v_mov_b32_e32 v14, 0x7f800001
	s_xor_b64 exec, exec, s[4:5]
	s_cbranch_execnz .LBB4_44
.LBB4_17:                               ;   in Loop: Header=BB4_3 Depth=1
	s_or_b64 exec, exec, s[4:5]
	s_and_saveexec_b64 s[4:5], s[2:3]
	s_cbranch_execz .LBB4_19
.LBB4_18:                               ;   in Loop: Header=BB4_3 Depth=1
	v_and_b32_e32 v15, 3, v10
	v_ffbh_u32_e32 v16, v15
	v_lshrrev_b16_e32 v14, 2, v10
	v_subrev_u32_e32 v17, 29, v16
	v_and_b32_e32 v14, 31, v14
	v_lshlrev_b32_e32 v17, v17, v10
	v_sub_u32_e32 v16, 30, v16
	v_and_b32_e32 v17, 3, v17
	v_cmp_eq_u32_e64 s[2:3], 0, v14
	s_nop 1
	v_cndmask_b32_e64 v15, v15, v17, s[2:3]
	v_cndmask_b32_e64 v14, v14, v16, s[2:3]
	v_lshlrev_b32_e32 v16, 24, v10
	v_lshlrev_b32_e32 v15, 21, v15
	v_and_b32_e32 v16, 0x80000000, v16
	v_lshl_add_u32 v14, v14, 23, v5
	v_or3_b32 v14, v16, v14, v15
.LBB4_19:                               ;   in Loop: Header=BB4_3 Depth=1
	s_or_b64 exec, exec, s[4:5]
	v_cmp_lt_i16_e64 s[2:3], s22, v11
	s_mov_b64 s[4:5], 0
	s_and_saveexec_b64 s[16:17], s[2:3]
	s_xor_b64 s[16:17], exec, s[16:17]
	s_cbranch_execnz .LBB4_45
; %bb.20:                               ;   in Loop: Header=BB4_3 Depth=1
	s_or_saveexec_b64 s[2:3], s[16:17]
	v_mov_b32_e32 v15, 0x7f800001
	s_xor_b64 exec, exec, s[2:3]
	s_cbranch_execnz .LBB4_48
.LBB4_21:                               ;   in Loop: Header=BB4_3 Depth=1
	s_or_b64 exec, exec, s[2:3]
	s_and_saveexec_b64 s[16:17], s[4:5]
	s_cbranch_execz .LBB4_23
.LBB4_22:                               ;   in Loop: Header=BB4_3 Depth=1
	v_and_b32_e32 v16, 0xffff, v11
	v_and_b32_e32 v17, 3, v16
	v_ffbh_u32_e32 v19, v17
	v_subrev_u32_e32 v20, 29, v19
	v_bfe_u32 v18, v16, 2, 5
	v_lshlrev_b32_e32 v16, v20, v16
	v_sub_u32_e32 v19, 30, v19
	v_and_b32_e32 v16, 3, v16
	v_cmp_eq_u32_e64 s[2:3], 0, v18
	v_lshlrev_b32_e32 v15, 24, v11
	v_and_b32_e32 v15, 0x80000000, v15
	v_cndmask_b32_e64 v16, v17, v16, s[2:3]
	v_cndmask_b32_e64 v17, v18, v19, s[2:3]
	v_lshlrev_b32_e32 v16, 21, v16
	v_lshl_add_u32 v17, v17, 23, v5
	v_or3_b32 v15, v15, v17, v16
.LBB4_23:                               ;   in Loop: Header=BB4_3 Depth=1
	s_or_b64 exec, exec, s[16:17]
	v_cmp_gt_i16_sdwa s[4:5], v1, s22 src0_sel:BYTE_0 src1_sel:DWORD
	s_mov_b64 s[2:3], 0
	s_and_saveexec_b64 s[16:17], s[4:5]
	s_xor_b64 s[4:5], exec, s[16:17]
	s_cbranch_execnz .LBB4_49
; %bb.24:                               ;   in Loop: Header=BB4_3 Depth=1
	s_or_saveexec_b64 s[4:5], s[4:5]
	v_mov_b32_e32 v16, 0x7f800001
	s_xor_b64 exec, exec, s[4:5]
	s_cbranch_execnz .LBB4_52
.LBB4_25:                               ;   in Loop: Header=BB4_3 Depth=1
	s_or_b64 exec, exec, s[4:5]
	s_and_saveexec_b64 s[4:5], s[2:3]
	s_cbranch_execz .LBB4_27
.LBB4_26:                               ;   in Loop: Header=BB4_3 Depth=1
	v_and_b32_e32 v17, 3, v1
	v_ffbh_u32_e32 v18, v17
	v_lshrrev_b16_e32 v16, 2, v1
	v_subrev_u32_e32 v19, 29, v18
	v_and_b32_e32 v16, 31, v16
	v_lshlrev_b32_e32 v19, v19, v1
	v_sub_u32_e32 v18, 30, v18
	v_and_b32_e32 v19, 3, v19
	v_cmp_eq_u32_e64 s[2:3], 0, v16
	s_nop 1
	v_cndmask_b32_e64 v17, v17, v19, s[2:3]
	v_cndmask_b32_e64 v16, v16, v18, s[2:3]
	v_lshlrev_b32_e32 v18, 24, v1
	v_lshlrev_b32_e32 v17, 21, v17
	v_and_b32_e32 v18, 0x80000000, v18
	v_lshl_add_u32 v16, v16, 23, v5
	v_or3_b32 v16, v18, v16, v17
.LBB4_27:                               ;   in Loop: Header=BB4_3 Depth=1
	s_or_b64 exec, exec, s[4:5]
	v_cmp_lt_i16_e64 s[2:3], s22, v11
	s_mov_b64 s[4:5], 0
	s_and_saveexec_b64 s[16:17], s[2:3]
	s_xor_b64 s[16:17], exec, s[16:17]
	s_cbranch_execnz .LBB4_53
; %bb.28:                               ;   in Loop: Header=BB4_3 Depth=1
	s_or_saveexec_b64 s[2:3], s[16:17]
	v_mov_b32_e32 v17, 0x7f800001
	s_xor_b64 exec, exec, s[2:3]
	s_cbranch_execnz .LBB4_56
.LBB4_29:                               ;   in Loop: Header=BB4_3 Depth=1
	s_or_b64 exec, exec, s[2:3]
	s_and_saveexec_b64 s[16:17], s[4:5]
	s_cbranch_execnz .LBB4_57
.LBB4_30:                               ;   in Loop: Header=BB4_3 Depth=1
	s_or_b64 exec, exec, s[16:17]
	v_cmp_ge_f32_e64 s[2:3], 0, v13
	s_and_saveexec_b64 s[4:5], s[2:3]
	s_cbranch_execz .LBB4_32
.LBB4_31:                               ;   in Loop: Header=BB4_3 Depth=1
	global_store_dword v9, v2, s[10:11] offset:16
.LBB4_32:                               ;   in Loop: Header=BB4_3 Depth=1
	s_or_b64 exec, exec, s[4:5]
	v_cmp_lt_i16_e64 s[4:5], s22, v11
	s_mov_b64 s[18:19], 0
	v_cmp_ne_u16_e64 s[2:3], s23, v11
	s_mov_b64 s[16:17], 0
	s_and_saveexec_b64 s[20:21], s[4:5]
	s_xor_b64 s[4:5], exec, s[20:21]
	s_cbranch_execnz .LBB4_58
; %bb.33:                               ;   in Loop: Header=BB4_3 Depth=1
	s_andn2_saveexec_b64 s[2:3], s[4:5]
	s_cbranch_execnz .LBB4_59
.LBB4_34:                               ;   in Loop: Header=BB4_3 Depth=1
	s_or_b64 exec, exec, s[2:3]
	s_mov_b64 s[20:21], 0
	s_and_saveexec_b64 s[4:5], s[18:19]
	s_cbranch_execnz .LBB4_60
.LBB4_35:                               ;   in Loop: Header=BB4_3 Depth=1
	s_or_b64 exec, exec, s[4:5]
	s_and_saveexec_b64 s[2:3], s[16:17]
	s_cbranch_execnz .LBB4_61
.LBB4_36:                               ;   in Loop: Header=BB4_3 Depth=1
	s_or_b64 exec, exec, s[2:3]
	s_and_saveexec_b64 s[2:3], s[20:21]
	s_cbranch_execz .LBB4_2
	s_branch .LBB4_62
.LBB4_37:                               ;   in Loop: Header=BB4_3 Depth=1
	v_cmp_eq_u16_e64 s[2:3], s23, v11
	s_mov_b64 s[4:5], -1
	s_and_saveexec_b64 s[18:19], s[2:3]
; %bb.38:                               ;   in Loop: Header=BB4_3 Depth=1
	s_xor_b64 s[4:5], exec, -1
; %bb.39:                               ;   in Loop: Header=BB4_3 Depth=1
	s_or_b64 exec, exec, s[18:19]
	s_and_b64 s[4:5], s[4:5], exec
	s_or_saveexec_b64 s[2:3], s[16:17]
	v_mov_b32_e32 v13, 0x7f800001
	s_xor_b64 exec, exec, s[2:3]
	s_cbranch_execz .LBB4_13
.LBB4_40:                               ;   in Loop: Header=BB4_3 Depth=1
	s_andn2_b64 s[4:5], s[4:5], exec
	s_and_b64 s[16:17], vcc, exec
	v_mov_b32_e32 v13, 0
	s_or_b64 s[4:5], s[4:5], s[16:17]
	s_or_b64 exec, exec, s[2:3]
	s_and_saveexec_b64 s[16:17], s[4:5]
	s_cbranch_execnz .LBB4_14
	s_branch .LBB4_15
.LBB4_41:                               ;   in Loop: Header=BB4_3 Depth=1
	v_cmp_eq_u16_sdwa s[18:19], v10, s23 src0_sel:BYTE_0 src1_sel:DWORD
	s_mov_b64 s[2:3], -1
	s_and_saveexec_b64 s[16:17], s[18:19]
; %bb.42:                               ;   in Loop: Header=BB4_3 Depth=1
	s_xor_b64 s[2:3], exec, -1
; %bb.43:                               ;   in Loop: Header=BB4_3 Depth=1
	s_or_b64 exec, exec, s[16:17]
	s_and_b64 s[2:3], s[2:3], exec
	s_or_saveexec_b64 s[4:5], s[4:5]
	v_mov_b32_e32 v14, 0x7f800001
	s_xor_b64 exec, exec, s[4:5]
	s_cbranch_execz .LBB4_17
.LBB4_44:                               ;   in Loop: Header=BB4_3 Depth=1
	v_cmp_ne_u16_sdwa s[16:17], v10, v9 src0_sel:BYTE_0 src1_sel:DWORD
	s_andn2_b64 s[2:3], s[2:3], exec
	s_and_b64 s[16:17], s[16:17], exec
	v_mov_b32_e32 v14, 0
	s_or_b64 s[2:3], s[2:3], s[16:17]
	s_or_b64 exec, exec, s[4:5]
	s_and_saveexec_b64 s[4:5], s[2:3]
	s_cbranch_execnz .LBB4_18
	s_branch .LBB4_19
.LBB4_45:                               ;   in Loop: Header=BB4_3 Depth=1
	v_cmp_eq_u16_e64 s[2:3], s23, v11
	s_mov_b64 s[4:5], -1
	s_and_saveexec_b64 s[18:19], s[2:3]
; %bb.46:                               ;   in Loop: Header=BB4_3 Depth=1
	s_xor_b64 s[4:5], exec, -1
; %bb.47:                               ;   in Loop: Header=BB4_3 Depth=1
	s_or_b64 exec, exec, s[18:19]
	s_and_b64 s[4:5], s[4:5], exec
	s_or_saveexec_b64 s[2:3], s[16:17]
	v_mov_b32_e32 v15, 0x7f800001
	s_xor_b64 exec, exec, s[2:3]
	s_cbranch_execz .LBB4_21
.LBB4_48:                               ;   in Loop: Header=BB4_3 Depth=1
	s_andn2_b64 s[4:5], s[4:5], exec
	s_and_b64 s[16:17], vcc, exec
	v_mov_b32_e32 v15, 0
	s_or_b64 s[4:5], s[4:5], s[16:17]
	s_or_b64 exec, exec, s[2:3]
	s_and_saveexec_b64 s[16:17], s[4:5]
	s_cbranch_execnz .LBB4_22
	s_branch .LBB4_23
.LBB4_49:                               ;   in Loop: Header=BB4_3 Depth=1
	v_cmp_eq_u16_sdwa s[18:19], v1, s23 src0_sel:BYTE_0 src1_sel:DWORD
	s_mov_b64 s[2:3], -1
	s_and_saveexec_b64 s[16:17], s[18:19]
; %bb.50:                               ;   in Loop: Header=BB4_3 Depth=1
	s_xor_b64 s[2:3], exec, -1
; %bb.51:                               ;   in Loop: Header=BB4_3 Depth=1
	s_or_b64 exec, exec, s[16:17]
	s_and_b64 s[2:3], s[2:3], exec
	s_or_saveexec_b64 s[4:5], s[4:5]
	v_mov_b32_e32 v16, 0x7f800001
	s_xor_b64 exec, exec, s[4:5]
	s_cbranch_execz .LBB4_25
.LBB4_52:                               ;   in Loop: Header=BB4_3 Depth=1
	v_cmp_ne_u16_sdwa s[16:17], v1, v9 src0_sel:BYTE_0 src1_sel:DWORD
	s_andn2_b64 s[2:3], s[2:3], exec
	s_and_b64 s[16:17], s[16:17], exec
	v_mov_b32_e32 v16, 0
	s_or_b64 s[2:3], s[2:3], s[16:17]
	s_or_b64 exec, exec, s[4:5]
	s_and_saveexec_b64 s[4:5], s[2:3]
	s_cbranch_execnz .LBB4_26
	s_branch .LBB4_27
.LBB4_53:                               ;   in Loop: Header=BB4_3 Depth=1
	v_cmp_eq_u16_e64 s[2:3], s23, v11
	s_mov_b64 s[4:5], -1
	s_and_saveexec_b64 s[18:19], s[2:3]
; %bb.54:                               ;   in Loop: Header=BB4_3 Depth=1
	s_xor_b64 s[4:5], exec, -1
; %bb.55:                               ;   in Loop: Header=BB4_3 Depth=1
	s_or_b64 exec, exec, s[18:19]
	s_and_b64 s[4:5], s[4:5], exec
	s_or_saveexec_b64 s[2:3], s[16:17]
	v_mov_b32_e32 v17, 0x7f800001
	s_xor_b64 exec, exec, s[2:3]
	s_cbranch_execz .LBB4_29
.LBB4_56:                               ;   in Loop: Header=BB4_3 Depth=1
	s_andn2_b64 s[4:5], s[4:5], exec
	s_and_b64 s[16:17], vcc, exec
	v_mov_b32_e32 v17, 0
	s_or_b64 s[4:5], s[4:5], s[16:17]
	s_or_b64 exec, exec, s[2:3]
	s_and_saveexec_b64 s[16:17], s[4:5]
	s_cbranch_execz .LBB4_30
.LBB4_57:                               ;   in Loop: Header=BB4_3 Depth=1
	v_and_b32_e32 v18, 0xffff, v11
	v_and_b32_e32 v19, 3, v18
	v_ffbh_u32_e32 v21, v19
	v_subrev_u32_e32 v22, 29, v21
	v_bfe_u32 v20, v18, 2, 5
	v_lshlrev_b32_e32 v18, v22, v18
	v_sub_u32_e32 v21, 30, v21
	v_and_b32_e32 v18, 3, v18
	v_cmp_eq_u32_e64 s[2:3], 0, v20
	v_lshlrev_b32_e32 v17, 24, v11
	v_and_b32_e32 v17, 0x80000000, v17
	v_cndmask_b32_e64 v18, v19, v18, s[2:3]
	v_cndmask_b32_e64 v19, v20, v21, s[2:3]
	v_lshlrev_b32_e32 v18, 21, v18
	v_lshl_add_u32 v19, v19, 23, v5
	v_or3_b32 v17, v17, v19, v18
	s_or_b64 exec, exec, s[16:17]
	v_cmp_ge_f32_e64 s[2:3], 0, v13
	s_and_saveexec_b64 s[4:5], s[2:3]
	s_cbranch_execnz .LBB4_31
	s_branch .LBB4_32
.LBB4_58:                               ;   in Loop: Header=BB4_3 Depth=1
	s_mov_b64 s[16:17], exec
	s_and_b64 s[18:19], s[2:3], exec
	s_andn2_saveexec_b64 s[2:3], s[4:5]
	s_cbranch_execz .LBB4_34
.LBB4_59:                               ;   in Loop: Header=BB4_3 Depth=1
	s_andn2_b64 s[4:5], s[18:19], exec
	s_and_b64 s[18:19], vcc, exec
	s_or_b64 s[18:19], s[4:5], s[18:19]
	s_or_b64 exec, exec, s[2:3]
	s_mov_b64 s[20:21], 0
	s_and_saveexec_b64 s[4:5], s[18:19]
	s_cbranch_execz .LBB4_35
.LBB4_60:                               ;   in Loop: Header=BB4_3 Depth=1
	v_and_b32_e32 v19, 0xffff, v11
	v_and_b32_e32 v20, 3, v19
	v_ffbh_u32_e32 v22, v20
	v_subrev_u32_e32 v23, 29, v22
	v_bfe_u32 v21, v19, 2, 5
	v_lshlrev_b32_e32 v19, v23, v19
	v_sub_u32_e32 v22, 30, v22
	v_and_b32_e32 v19, 3, v19
	v_cmp_eq_u32_e32 vcc, 0, v21
	v_lshlrev_b32_e32 v18, 24, v11
	v_and_b32_e32 v18, 0x80000000, v18
	v_cndmask_b32_e32 v19, v20, v19, vcc
	v_cndmask_b32_e32 v20, v21, v22, vcc
	v_lshlrev_b32_e32 v19, 21, v19
	v_lshl_add_u32 v20, v20, 23, v5
	v_or3_b32 v18, v18, v20, v19
	v_cmp_u_f32_e32 vcc, v18, v18
	v_cmp_o_f32_e64 s[2:3], v18, v18
	s_and_b64 s[20:21], s[2:3], exec
	s_andn2_b64 s[2:3], s[16:17], exec
	s_and_b64 s[16:17], vcc, exec
	s_or_b64 s[16:17], s[2:3], s[16:17]
	s_or_b64 exec, exec, s[4:5]
	s_and_saveexec_b64 s[2:3], s[16:17]
	s_cbranch_execz .LBB4_36
.LBB4_61:                               ;   in Loop: Header=BB4_3 Depth=1
	s_or_b64 s[20:21], s[20:21], exec
	global_store_dword v9, v2, s[10:11] offset:20
	s_or_b64 exec, exec, s[2:3]
	s_and_saveexec_b64 s[2:3], s[20:21]
	s_cbranch_execz .LBB4_2
.LBB4_62:                               ;   in Loop: Header=BB4_3 Depth=1
	v_cmp_ne_u16_e32 vcc, s23, v11
	s_and_b64 exec, exec, vcc
	s_cbranch_execz .LBB4_2
; %bb.63:                               ;   in Loop: Header=BB4_3 Depth=1
	v_and_b32_e32 v19, 0xffff, v11
	v_and_b32_e32 v20, 3, v19
	v_ffbh_u32_e32 v22, v20
	v_subrev_u32_e32 v23, 29, v22
	v_bfe_u32 v21, v19, 2, 5
	v_lshlrev_b32_e32 v19, v23, v19
	v_sub_u32_e32 v22, 30, v22
	v_and_b32_e32 v19, 3, v19
	v_cmp_eq_u32_e32 vcc, 0, v21
	v_lshlrev_b32_e32 v18, 24, v11
	v_and_b32_e32 v18, 0x80000000, v18
	v_cndmask_b32_e32 v19, v20, v19, vcc
	v_cndmask_b32_e32 v20, v21, v22, vcc
	v_lshlrev_b32_e32 v19, 21, v19
	v_lshl_add_u32 v20, v20, 23, v5
	v_or3_b32 v18, v18, v20, v19
	v_cmp_class_f32_e64 s[4:5], v18, s24
	s_and_b64 exec, exec, s[4:5]
	s_cbranch_execz .LBB4_2
; %bb.64:                               ;   in Loop: Header=BB4_3 Depth=1
	global_store_dword v9, v2, s[10:11] offset:24
	s_branch .LBB4_2
.LBB4_65:
	s_or_b64 exec, exec, s[14:15]
.LBB4_66:
	s_or_b64 exec, exec, s[6:7]
	s_load_dword s0, s[0:1], 0x18
	s_waitcnt lgkmcnt(0)
	s_bitcmp1_b32 s0, 0
	s_cselect_b64 s[0:1], -1, 0
	s_and_b64 vcc, exec, s[0:1]
	s_cbranch_vccz .LBB4_102
; %bb.67:
	s_movk_i32 s0, 0x7f
	v_lshlrev_b32_e32 v2, 4, v0
	v_mov_b32_e32 v5, v3
	v_cmp_gt_i16_sdwa s[2:3], v10, s0 src0_sel:BYTE_0 src1_sel:DWORD
	s_mov_b64 s[0:1], 0
	ds_write_b64 v2, v[4:5]
	s_and_saveexec_b64 s[4:5], s[2:3]
	s_xor_b64 s[2:3], exec, s[4:5]
	s_cbranch_execnz .LBB4_103
; %bb.68:
	s_or_saveexec_b64 s[2:3], s[2:3]
	v_mov_b32_e32 v3, 0x7f800001
	s_xor_b64 exec, exec, s[2:3]
	s_cbranch_execnz .LBB4_106
.LBB4_69:
	s_or_b64 exec, exec, s[2:3]
	s_and_saveexec_b64 s[2:3], s[0:1]
	s_cbranch_execz .LBB4_71
.LBB4_70:
	v_and_b32_e32 v4, 3, v10
	v_ffbh_u32_e32 v5, v4
	v_lshrrev_b16_e32 v3, 2, v10
	v_subrev_u32_e32 v6, 29, v5
	v_and_b32_e32 v3, 31, v3
	v_lshlrev_b32_e32 v6, v6, v10
	v_sub_u32_e32 v5, 30, v5
	v_and_b32_e32 v6, 3, v6
	v_cmp_eq_u32_e32 vcc, 0, v3
	s_nop 1
	v_cndmask_b32_e32 v4, v4, v6, vcc
	v_cndmask_b32_e32 v3, v3, v5, vcc
	v_lshlrev_b32_e32 v5, 24, v10
	v_mov_b32_e32 v6, 0x37800000
	v_lshlrev_b32_e32 v4, 21, v4
	v_and_b32_e32 v5, 0x80000000, v5
	v_lshl_add_u32 v3, v3, 23, v6
	v_or3_b32 v3, v5, v3, v4
.LBB4_71:
	s_or_b64 exec, exec, s[2:3]
	s_movk_i32 s0, 0x7f
	v_cmp_gt_i16_sdwa s[2:3], v1, s0 src0_sel:BYTE_0 src1_sel:DWORD
	s_mov_b64 s[0:1], 0
	ds_write_b32 v2, v3 offset:8
	s_and_saveexec_b64 s[4:5], s[2:3]
	s_xor_b64 s[2:3], exec, s[4:5]
	s_cbranch_execnz .LBB4_107
; %bb.72:
	s_or_saveexec_b64 s[2:3], s[2:3]
	v_mov_b32_e32 v3, 0x7f800001
	s_xor_b64 exec, exec, s[2:3]
	s_cbranch_execnz .LBB4_110
.LBB4_73:
	s_or_b64 exec, exec, s[2:3]
	s_and_saveexec_b64 s[2:3], s[0:1]
	s_cbranch_execz .LBB4_75
.LBB4_74:
	v_and_b32_e32 v4, 3, v1
	v_ffbh_u32_e32 v5, v4
	v_lshrrev_b16_e32 v3, 2, v1
	v_subrev_u32_e32 v6, 29, v5
	v_and_b32_e32 v3, 31, v3
	v_lshlrev_b32_e32 v6, v6, v1
	v_sub_u32_e32 v5, 30, v5
	v_and_b32_e32 v6, 3, v6
	v_cmp_eq_u32_e32 vcc, 0, v3
	v_lshlrev_b32_e32 v1, 24, v1
	v_and_b32_e32 v1, 0x80000000, v1
	v_cndmask_b32_e32 v4, v4, v6, vcc
	v_cndmask_b32_e32 v3, v3, v5, vcc
	v_mov_b32_e32 v5, 0x37800000
	v_lshlrev_b32_e32 v4, 21, v4
	v_lshl_add_u32 v3, v3, 23, v5
	v_or3_b32 v3, v1, v3, v4
.LBB4_75:
	s_or_b64 exec, exec, s[2:3]
	s_movk_i32 s0, 0x80
	v_cmp_gt_u32_e32 vcc, s0, v0
	ds_write_b32 v2, v3 offset:12
	s_waitcnt lgkmcnt(0)
	s_barrier
	s_and_saveexec_b64 s[0:1], vcc
	s_cbranch_execz .LBB4_77
; %bb.76:
	ds_read_b128 v[4:7], v2 offset:2048
	ds_read_b128 v[8:11], v2
	s_waitcnt lgkmcnt(1)
	v_max_f32_e32 v1, v6, v6
	s_waitcnt lgkmcnt(0)
	v_max_f32_e32 v3, v10, v10
	v_max_f32_e32 v7, v7, v7
	v_min_f32_e32 v6, v3, v1
	v_max_f32_e32 v1, v11, v11
	v_pk_add_f32 v[4:5], v[4:5], v[8:9]
	v_max_f32_e32 v7, v1, v7
	ds_write_b128 v2, v[4:7]
.LBB4_77:
	s_or_b64 exec, exec, s[0:1]
	v_cmp_gt_u32_e32 vcc, 64, v0
	s_waitcnt lgkmcnt(0)
	s_barrier
	s_and_saveexec_b64 s[0:1], vcc
	s_cbranch_execz .LBB4_79
; %bb.78:
	ds_read_b128 v[4:7], v2 offset:1024
	ds_read_b128 v[8:11], v2
	s_waitcnt lgkmcnt(1)
	v_max_f32_e32 v1, v6, v6
	s_waitcnt lgkmcnt(0)
	v_max_f32_e32 v3, v10, v10
	v_max_f32_e32 v7, v7, v7
	v_min_f32_e32 v6, v3, v1
	v_max_f32_e32 v1, v11, v11
	v_pk_add_f32 v[4:5], v[4:5], v[8:9]
	v_max_f32_e32 v7, v1, v7
	ds_write_b128 v2, v[4:7]
.LBB4_79:
	s_or_b64 exec, exec, s[0:1]
	v_cmp_gt_u32_e32 vcc, 32, v0
	;; [unrolled: 20-line block ×6, first 2 shown]
	s_waitcnt lgkmcnt(0)
	s_barrier
	s_and_saveexec_b64 s[0:1], vcc
	s_cbranch_execz .LBB4_89
; %bb.88:
	ds_read_b128 v[4:7], v2
	ds_read_b128 v[8:11], v2 offset:32
	s_waitcnt lgkmcnt(1)
	v_max_f32_e32 v3, v6, v6
	s_waitcnt lgkmcnt(0)
	v_max_f32_e32 v1, v10, v10
	v_pk_add_f32 v[4:5], v[8:9], v[4:5]
	v_max_f32_e32 v8, v11, v11
	v_min_f32_e32 v6, v3, v1
	v_max_f32_e32 v1, v7, v7
	v_max_f32_e32 v7, v1, v8
	ds_write_b128 v2, v[4:7]
.LBB4_89:
	s_or_b64 exec, exec, s[0:1]
	v_cmp_eq_u32_e32 vcc, 0, v0
	s_waitcnt lgkmcnt(0)
	s_barrier
	s_and_saveexec_b64 s[0:1], vcc
	s_cbranch_execz .LBB4_91
; %bb.90:
	ds_read_b128 v[4:7], v2
	ds_read_b128 v[8:11], v2 offset:16
	s_waitcnt lgkmcnt(1)
	v_max_f32_e32 v1, v6, v6
	s_waitcnt lgkmcnt(0)
	v_max_f32_e32 v0, v10, v10
	v_max_f32_e32 v3, v11, v11
	v_min_f32_e32 v6, v1, v0
	v_max_f32_e32 v0, v7, v7
	v_pk_add_f32 v[4:5], v[8:9], v[4:5]
	v_max_f32_e32 v7, v0, v3
	ds_write_b128 v2, v[4:7]
.LBB4_91:
	s_or_b64 exec, exec, s[0:1]
	s_waitcnt lgkmcnt(0)
	s_barrier
	s_and_saveexec_b64 s[0:1], vcc
	s_cbranch_execz .LBB4_102
; %bb.92:
	s_mov_b64 s[2:3], exec
	v_mbcnt_lo_u32_b32 v0, s2, 0
	v_mbcnt_hi_u32_b32 v0, s3, v0
	v_cmp_eq_u32_e32 vcc, 0, v0
	s_and_saveexec_b64 s[0:1], vcc
	s_cbranch_execz .LBB4_94
; %bb.93:
	v_mov_b32_e32 v0, 0
	ds_read_b32 v1, v0
	s_bcnt1_i32_b64 s2, s[2:3]
	v_cvt_f32_ubyte0_e32 v2, s2
	s_waitcnt lgkmcnt(0)
	v_mul_f32_e32 v1, v1, v2
	global_atomic_add_f32 v0, v1, s[10:11]
.LBB4_94:
	s_or_b64 exec, exec, s[0:1]
	s_mov_b64 s[2:3], exec
	v_mbcnt_lo_u32_b32 v0, s2, 0
	v_mbcnt_hi_u32_b32 v0, s3, v0
	v_cmp_eq_u32_e32 vcc, 0, v0
	s_and_saveexec_b64 s[0:1], vcc
	s_cbranch_execz .LBB4_96
; %bb.95:
	v_mov_b32_e32 v0, 0
	ds_read_b32 v1, v0 offset:4
	s_bcnt1_i32_b64 s2, s[2:3]
	v_cvt_f32_ubyte0_e32 v2, s2
	s_waitcnt lgkmcnt(0)
	v_mul_f32_e32 v1, v1, v2
	global_atomic_add_f32 v0, v1, s[10:11] offset:4
.LBB4_96:
	s_or_b64 exec, exec, s[0:1]
	v_mbcnt_lo_u32_b32 v0, exec_lo, 0
	v_mbcnt_hi_u32_b32 v0, exec_hi, v0
	v_cmp_eq_u32_e32 vcc, 0, v0
	s_and_saveexec_b64 s[0:1], vcc
	s_cbranch_execz .LBB4_99
; %bb.97:
	v_mov_b32_e32 v2, 0
	s_load_dword s4, s[10:11], 0x8
	ds_read_b32 v0, v2 offset:8
	s_mov_b64 s[2:3], 0
	s_waitcnt lgkmcnt(0)
	v_mov_b32_e32 v1, s4
	v_max_f32_e32 v3, v0, v0
.LBB4_98:                               ; =>This Inner Loop Header: Depth=1
	v_max_f32_e32 v0, v1, v1
	v_min_f32_e32 v0, v0, v3
	global_atomic_cmpswap v0, v2, v[0:1], s[10:11] offset:8 sc0
	s_waitcnt vmcnt(0)
	v_cmp_eq_u32_e32 vcc, v0, v1
	s_or_b64 s[2:3], vcc, s[2:3]
	v_mov_b32_e32 v1, v0
	s_andn2_b64 exec, exec, s[2:3]
	s_cbranch_execnz .LBB4_98
.LBB4_99:
	s_or_b64 exec, exec, s[0:1]
	v_mbcnt_lo_u32_b32 v0, exec_lo, 0
	v_mbcnt_hi_u32_b32 v0, exec_hi, v0
	v_cmp_eq_u32_e32 vcc, 0, v0
	s_and_b64 exec, exec, vcc
	s_cbranch_execz .LBB4_102
; %bb.100:
	v_mov_b32_e32 v2, 0
	s_load_dword s2, s[10:11], 0xc
	ds_read_b32 v0, v2 offset:12
	s_mov_b64 s[0:1], 0
	s_waitcnt lgkmcnt(0)
	v_mov_b32_e32 v1, s2
	v_max_f32_e32 v3, v0, v0
.LBB4_101:                              ; =>This Inner Loop Header: Depth=1
	v_max_f32_e32 v0, v1, v1
	v_max_f32_e32 v0, v0, v3
	global_atomic_cmpswap v0, v2, v[0:1], s[10:11] offset:12 sc0
	s_waitcnt vmcnt(0)
	v_cmp_eq_u32_e32 vcc, v0, v1
	s_or_b64 s[0:1], vcc, s[0:1]
	v_mov_b32_e32 v1, v0
	s_andn2_b64 exec, exec, s[0:1]
	s_cbranch_execnz .LBB4_101
.LBB4_102:
	s_endpgm
.LBB4_103:
	s_movk_i32 s0, 0x80
	v_cmp_eq_u16_sdwa s[6:7], v10, s0 src0_sel:BYTE_0 src1_sel:DWORD
	s_mov_b64 s[0:1], -1
	s_and_saveexec_b64 s[4:5], s[6:7]
; %bb.104:
	s_xor_b64 s[0:1], exec, -1
; %bb.105:
	s_or_b64 exec, exec, s[4:5]
	s_and_b64 s[0:1], s[0:1], exec
	s_or_saveexec_b64 s[2:3], s[2:3]
	v_mov_b32_e32 v3, 0x7f800001
	s_xor_b64 exec, exec, s[2:3]
	s_cbranch_execz .LBB4_69
.LBB4_106:
	s_mov_b32 s4, 0xffff
	v_mov_b32_e32 v4, 0
	v_and_b32_sdwa v3, s4, v10 dst_sel:DWORD dst_unused:UNUSED_PAD src0_sel:DWORD src1_sel:BYTE_0
	v_cmp_ne_u16_sdwa s[4:5], v10, v4 src0_sel:BYTE_0 src1_sel:DWORD
	s_andn2_b64 s[0:1], s[0:1], exec
	s_and_b64 s[4:5], s[4:5], exec
	s_or_b64 s[0:1], s[0:1], s[4:5]
	s_or_b64 exec, exec, s[2:3]
	s_and_saveexec_b64 s[2:3], s[0:1]
	s_cbranch_execnz .LBB4_70
	s_branch .LBB4_71
.LBB4_107:
	s_movk_i32 s0, 0x80
	v_cmp_eq_u16_sdwa s[6:7], v1, s0 src0_sel:BYTE_0 src1_sel:DWORD
	s_mov_b64 s[0:1], -1
	s_and_saveexec_b64 s[4:5], s[6:7]
; %bb.108:
	s_xor_b64 s[0:1], exec, -1
; %bb.109:
	s_or_b64 exec, exec, s[4:5]
	s_and_b64 s[0:1], s[0:1], exec
	s_or_saveexec_b64 s[2:3], s[2:3]
	v_mov_b32_e32 v3, 0x7f800001
	s_xor_b64 exec, exec, s[2:3]
	s_cbranch_execz .LBB4_73
.LBB4_110:
	s_mov_b32 s4, 0xffff
	v_mov_b32_e32 v4, 0
	v_and_b32_sdwa v3, s4, v1 dst_sel:DWORD dst_unused:UNUSED_PAD src0_sel:DWORD src1_sel:BYTE_0
	v_cmp_ne_u16_sdwa s[4:5], v1, v4 src0_sel:BYTE_0 src1_sel:DWORD
	s_andn2_b64 s[0:1], s[0:1], exec
	s_and_b64 s[4:5], s[4:5], exec
	s_or_b64 s[0:1], s[0:1], s[4:5]
	s_or_b64 exec, exec, s[2:3]
	s_and_saveexec_b64 s[2:3], s[0:1]
	s_cbranch_execnz .LBB4_74
	s_branch .LBB4_75
	.section	.rodata,"a",@progbits
	.p2align	6, 0x0
	.amdhsa_kernel check_numerics_bf8
		.amdhsa_group_segment_fixed_size 4096
		.amdhsa_private_segment_fixed_size 0
		.amdhsa_kernarg_size 288
		.amdhsa_user_sgpr_count 2
		.amdhsa_user_sgpr_dispatch_ptr 0
		.amdhsa_user_sgpr_queue_ptr 0
		.amdhsa_user_sgpr_kernarg_segment_ptr 1
		.amdhsa_user_sgpr_dispatch_id 0
		.amdhsa_user_sgpr_kernarg_preload_length 0
		.amdhsa_user_sgpr_kernarg_preload_offset 0
		.amdhsa_user_sgpr_private_segment_size 0
		.amdhsa_uses_dynamic_stack 0
		.amdhsa_enable_private_segment 0
		.amdhsa_system_sgpr_workgroup_id_x 1
		.amdhsa_system_sgpr_workgroup_id_y 0
		.amdhsa_system_sgpr_workgroup_id_z 0
		.amdhsa_system_sgpr_workgroup_info 0
		.amdhsa_system_vgpr_workitem_id 0
		.amdhsa_next_free_vgpr 24
		.amdhsa_next_free_sgpr 25
		.amdhsa_accum_offset 24
		.amdhsa_reserve_vcc 1
		.amdhsa_float_round_mode_32 0
		.amdhsa_float_round_mode_16_64 0
		.amdhsa_float_denorm_mode_32 3
		.amdhsa_float_denorm_mode_16_64 3
		.amdhsa_dx10_clamp 1
		.amdhsa_ieee_mode 1
		.amdhsa_fp16_overflow 0
		.amdhsa_tg_split 0
		.amdhsa_exception_fp_ieee_invalid_op 0
		.amdhsa_exception_fp_denorm_src 0
		.amdhsa_exception_fp_ieee_div_zero 0
		.amdhsa_exception_fp_ieee_overflow 0
		.amdhsa_exception_fp_ieee_underflow 0
		.amdhsa_exception_fp_ieee_inexact 0
		.amdhsa_exception_int_div_zero 0
	.end_amdhsa_kernel
	.text
.Lfunc_end4:
	.size	check_numerics_bf8, .Lfunc_end4-check_numerics_bf8
                                        ; -- End function
	.set check_numerics_bf8.num_vgpr, 24
	.set check_numerics_bf8.num_agpr, 0
	.set check_numerics_bf8.numbered_sgpr, 25
	.set check_numerics_bf8.num_named_barrier, 0
	.set check_numerics_bf8.private_seg_size, 0
	.set check_numerics_bf8.uses_vcc, 1
	.set check_numerics_bf8.uses_flat_scratch, 0
	.set check_numerics_bf8.has_dyn_sized_stack, 0
	.set check_numerics_bf8.has_recursion, 0
	.set check_numerics_bf8.has_indirect_call, 0
	.section	.AMDGPU.csdata,"",@progbits
; Kernel info:
; codeLenInByte = 3764
; TotalNumSgprs: 31
; NumVgprs: 24
; NumAgprs: 0
; TotalNumVgprs: 24
; ScratchSize: 0
; MemoryBound: 0
; FloatMode: 240
; IeeeMode: 1
; LDSByteSize: 4096 bytes/workgroup (compile time only)
; SGPRBlocks: 3
; VGPRBlocks: 2
; NumSGPRsForWavesPerEU: 31
; NumVGPRsForWavesPerEU: 24
; AccumOffset: 24
; Occupancy: 8
; WaveLimiterHint : 0
; COMPUTE_PGM_RSRC2:SCRATCH_EN: 0
; COMPUTE_PGM_RSRC2:USER_SGPR: 2
; COMPUTE_PGM_RSRC2:TRAP_HANDLER: 0
; COMPUTE_PGM_RSRC2:TGID_X_EN: 1
; COMPUTE_PGM_RSRC2:TGID_Y_EN: 0
; COMPUTE_PGM_RSRC2:TGID_Z_EN: 0
; COMPUTE_PGM_RSRC2:TIDIG_COMP_CNT: 0
; COMPUTE_PGM_RSRC3_GFX90A:ACCUM_OFFSET: 5
; COMPUTE_PGM_RSRC3_GFX90A:TG_SPLIT: 0
	.text
	.p2alignl 6, 3212836864
	.fill 256, 4, 3212836864
	.section	.AMDGPU.gpr_maximums,"",@progbits
	.set amdgpu.max_num_vgpr, 0
	.set amdgpu.max_num_agpr, 0
	.set amdgpu.max_num_sgpr, 0
	.text
	.type	__hip_cuid_3279f8d1d3d2294e,@object ; @__hip_cuid_3279f8d1d3d2294e
	.section	.bss,"aw",@nobits
	.globl	__hip_cuid_3279f8d1d3d2294e
__hip_cuid_3279f8d1d3d2294e:
	.byte	0                               ; 0x0
	.size	__hip_cuid_3279f8d1d3d2294e, 1

	.ident	"AMD clang version 22.0.0git (https://github.com/RadeonOpenCompute/llvm-project roc-7.2.4 26084 f58b06dce1f9c15707c5f808fd002e18c2accf7e)"
	.section	".note.GNU-stack","",@progbits
	.addrsig
	.addrsig_sym __hip_cuid_3279f8d1d3d2294e
	.amdgpu_metadata
---
amdhsa.kernels:
  - .agpr_count:     0
    .args:
      - .actual_access:  read_only
        .address_space:  global
        .offset:         0
        .size:           8
        .value_kind:     global_buffer
      - .offset:         8
        .size:           8
        .value_kind:     by_value
      - .address_space:  global
        .offset:         16
        .size:           8
        .value_kind:     global_buffer
      - .offset:         24
        .size:           1
        .value_kind:     by_value
      - .offset:         32
        .size:           4
        .value_kind:     hidden_block_count_x
      - .offset:         36
        .size:           4
        .value_kind:     hidden_block_count_y
      - .offset:         40
        .size:           4
        .value_kind:     hidden_block_count_z
      - .offset:         44
        .size:           2
        .value_kind:     hidden_group_size_x
      - .offset:         46
        .size:           2
        .value_kind:     hidden_group_size_y
      - .offset:         48
        .size:           2
        .value_kind:     hidden_group_size_z
      - .offset:         50
        .size:           2
        .value_kind:     hidden_remainder_x
      - .offset:         52
        .size:           2
        .value_kind:     hidden_remainder_y
      - .offset:         54
        .size:           2
        .value_kind:     hidden_remainder_z
      - .offset:         72
        .size:           8
        .value_kind:     hidden_global_offset_x
      - .offset:         80
        .size:           8
        .value_kind:     hidden_global_offset_y
      - .offset:         88
        .size:           8
        .value_kind:     hidden_global_offset_z
      - .offset:         96
        .size:           2
        .value_kind:     hidden_grid_dims
    .group_segment_fixed_size: 4096
    .kernarg_segment_align: 8
    .kernarg_segment_size: 288
    .language:       OpenCL C
    .language_version:
      - 2
      - 0
    .max_flat_workgroup_size: 1024
    .name:           check_numerics_fp32
    .private_segment_fixed_size: 0
    .sgpr_count:     22
    .sgpr_spill_count: 0
    .symbol:         check_numerics_fp32.kd
    .uniform_work_group_size: 1
    .uses_dynamic_stack: false
    .vgpr_count:     16
    .vgpr_spill_count: 0
    .wavefront_size: 64
  - .agpr_count:     0
    .args:
      - .actual_access:  read_only
        .address_space:  global
        .offset:         0
        .size:           8
        .value_kind:     global_buffer
      - .offset:         8
        .size:           8
        .value_kind:     by_value
      - .address_space:  global
        .offset:         16
        .size:           8
        .value_kind:     global_buffer
      - .offset:         24
        .size:           1
        .value_kind:     by_value
      - .offset:         32
        .size:           4
        .value_kind:     hidden_block_count_x
      - .offset:         36
        .size:           4
        .value_kind:     hidden_block_count_y
      - .offset:         40
        .size:           4
        .value_kind:     hidden_block_count_z
      - .offset:         44
        .size:           2
        .value_kind:     hidden_group_size_x
      - .offset:         46
        .size:           2
        .value_kind:     hidden_group_size_y
      - .offset:         48
        .size:           2
        .value_kind:     hidden_group_size_z
      - .offset:         50
        .size:           2
        .value_kind:     hidden_remainder_x
      - .offset:         52
        .size:           2
        .value_kind:     hidden_remainder_y
      - .offset:         54
        .size:           2
        .value_kind:     hidden_remainder_z
      - .offset:         72
        .size:           8
        .value_kind:     hidden_global_offset_x
      - .offset:         80
        .size:           8
        .value_kind:     hidden_global_offset_y
      - .offset:         88
        .size:           8
        .value_kind:     hidden_global_offset_z
      - .offset:         96
        .size:           2
        .value_kind:     hidden_grid_dims
    .group_segment_fixed_size: 4096
    .kernarg_segment_align: 8
    .kernarg_segment_size: 288
    .language:       OpenCL C
    .language_version:
      - 2
      - 0
    .max_flat_workgroup_size: 1024
    .name:           check_numerics_fp16
    .private_segment_fixed_size: 0
    .sgpr_count:     22
    .sgpr_spill_count: 0
    .symbol:         check_numerics_fp16.kd
    .uniform_work_group_size: 1
    .uses_dynamic_stack: false
    .vgpr_count:     17
    .vgpr_spill_count: 0
    .wavefront_size: 64
  - .agpr_count:     0
    .args:
      - .actual_access:  read_only
        .address_space:  global
        .offset:         0
        .size:           8
        .value_kind:     global_buffer
      - .offset:         8
        .size:           8
        .value_kind:     by_value
      - .address_space:  global
        .offset:         16
        .size:           8
        .value_kind:     global_buffer
      - .offset:         24
        .size:           1
        .value_kind:     by_value
      - .offset:         32
        .size:           4
        .value_kind:     hidden_block_count_x
      - .offset:         36
        .size:           4
        .value_kind:     hidden_block_count_y
      - .offset:         40
        .size:           4
        .value_kind:     hidden_block_count_z
      - .offset:         44
        .size:           2
        .value_kind:     hidden_group_size_x
      - .offset:         46
        .size:           2
        .value_kind:     hidden_group_size_y
      - .offset:         48
        .size:           2
        .value_kind:     hidden_group_size_z
      - .offset:         50
        .size:           2
        .value_kind:     hidden_remainder_x
      - .offset:         52
        .size:           2
        .value_kind:     hidden_remainder_y
      - .offset:         54
        .size:           2
        .value_kind:     hidden_remainder_z
      - .offset:         72
        .size:           8
        .value_kind:     hidden_global_offset_x
      - .offset:         80
        .size:           8
        .value_kind:     hidden_global_offset_y
      - .offset:         88
        .size:           8
        .value_kind:     hidden_global_offset_z
      - .offset:         96
        .size:           2
        .value_kind:     hidden_grid_dims
    .group_segment_fixed_size: 4096
    .kernarg_segment_align: 8
    .kernarg_segment_size: 288
    .language:       OpenCL C
    .language_version:
      - 2
      - 0
    .max_flat_workgroup_size: 1024
    .name:           check_numerics_bf16
    .private_segment_fixed_size: 0
    .sgpr_count:     22
    .sgpr_spill_count: 0
    .symbol:         check_numerics_bf16.kd
    .uniform_work_group_size: 1
    .uses_dynamic_stack: false
    .vgpr_count:     19
    .vgpr_spill_count: 0
    .wavefront_size: 64
  - .agpr_count:     0
    .args:
      - .actual_access:  read_only
        .address_space:  global
        .offset:         0
        .size:           8
        .value_kind:     global_buffer
      - .offset:         8
        .size:           8
        .value_kind:     by_value
      - .address_space:  global
        .offset:         16
        .size:           8
        .value_kind:     global_buffer
      - .offset:         24
        .size:           1
        .value_kind:     by_value
      - .offset:         32
        .size:           4
        .value_kind:     hidden_block_count_x
      - .offset:         36
        .size:           4
        .value_kind:     hidden_block_count_y
      - .offset:         40
        .size:           4
        .value_kind:     hidden_block_count_z
      - .offset:         44
        .size:           2
        .value_kind:     hidden_group_size_x
      - .offset:         46
        .size:           2
        .value_kind:     hidden_group_size_y
      - .offset:         48
        .size:           2
        .value_kind:     hidden_group_size_z
      - .offset:         50
        .size:           2
        .value_kind:     hidden_remainder_x
      - .offset:         52
        .size:           2
        .value_kind:     hidden_remainder_y
      - .offset:         54
        .size:           2
        .value_kind:     hidden_remainder_z
      - .offset:         72
        .size:           8
        .value_kind:     hidden_global_offset_x
      - .offset:         80
        .size:           8
        .value_kind:     hidden_global_offset_y
      - .offset:         88
        .size:           8
        .value_kind:     hidden_global_offset_z
      - .offset:         96
        .size:           2
        .value_kind:     hidden_grid_dims
    .group_segment_fixed_size: 4096
    .kernarg_segment_align: 8
    .kernarg_segment_size: 288
    .language:       OpenCL C
    .language_version:
      - 2
      - 0
    .max_flat_workgroup_size: 1024
    .name:           check_numerics_fp8
    .private_segment_fixed_size: 0
    .sgpr_count:     31
    .sgpr_spill_count: 0
    .symbol:         check_numerics_fp8.kd
    .uniform_work_group_size: 1
    .uses_dynamic_stack: false
    .vgpr_count:     24
    .vgpr_spill_count: 0
    .wavefront_size: 64
  - .agpr_count:     0
    .args:
      - .actual_access:  read_only
        .address_space:  global
        .offset:         0
        .size:           8
        .value_kind:     global_buffer
      - .offset:         8
        .size:           8
        .value_kind:     by_value
      - .address_space:  global
        .offset:         16
        .size:           8
        .value_kind:     global_buffer
      - .offset:         24
        .size:           1
        .value_kind:     by_value
      - .offset:         32
        .size:           4
        .value_kind:     hidden_block_count_x
      - .offset:         36
        .size:           4
        .value_kind:     hidden_block_count_y
      - .offset:         40
        .size:           4
        .value_kind:     hidden_block_count_z
      - .offset:         44
        .size:           2
        .value_kind:     hidden_group_size_x
      - .offset:         46
        .size:           2
        .value_kind:     hidden_group_size_y
      - .offset:         48
        .size:           2
        .value_kind:     hidden_group_size_z
      - .offset:         50
        .size:           2
        .value_kind:     hidden_remainder_x
      - .offset:         52
        .size:           2
        .value_kind:     hidden_remainder_y
      - .offset:         54
        .size:           2
        .value_kind:     hidden_remainder_z
      - .offset:         72
        .size:           8
        .value_kind:     hidden_global_offset_x
      - .offset:         80
        .size:           8
        .value_kind:     hidden_global_offset_y
      - .offset:         88
        .size:           8
        .value_kind:     hidden_global_offset_z
      - .offset:         96
        .size:           2
        .value_kind:     hidden_grid_dims
    .group_segment_fixed_size: 4096
    .kernarg_segment_align: 8
    .kernarg_segment_size: 288
    .language:       OpenCL C
    .language_version:
      - 2
      - 0
    .max_flat_workgroup_size: 1024
    .name:           check_numerics_bf8
    .private_segment_fixed_size: 0
    .sgpr_count:     31
    .sgpr_spill_count: 0
    .symbol:         check_numerics_bf8.kd
    .uniform_work_group_size: 1
    .uses_dynamic_stack: false
    .vgpr_count:     24
    .vgpr_spill_count: 0
    .wavefront_size: 64
amdhsa.target:   amdgcn-amd-amdhsa--gfx950
amdhsa.version:
  - 1
  - 2
...

	.end_amdgpu_metadata
